;; amdgpu-corpus repo=ROCm/rocFFT kind=compiled arch=gfx1201 opt=O3
	.text
	.amdgcn_target "amdgcn-amd-amdhsa--gfx1201"
	.amdhsa_code_object_version 6
	.protected	bluestein_single_fwd_len306_dim1_dp_op_CI_CI ; -- Begin function bluestein_single_fwd_len306_dim1_dp_op_CI_CI
	.globl	bluestein_single_fwd_len306_dim1_dp_op_CI_CI
	.p2align	8
	.type	bluestein_single_fwd_len306_dim1_dp_op_CI_CI,@function
bluestein_single_fwd_len306_dim1_dp_op_CI_CI: ; @bluestein_single_fwd_len306_dim1_dp_op_CI_CI
; %bb.0:
	s_load_b128 s[4:7], s[0:1], 0x28
	v_mul_u32_u24_e32 v1, 0x788, v0
	s_mov_b32 s2, exec_lo
	s_delay_alu instid0(VALU_DEP_1) | instskip(NEXT) | instid1(VALU_DEP_1)
	v_lshrrev_b32_e32 v1, 16, v1
	v_mad_co_u64_u32 v[4:5], null, ttmp9, 7, v[1:2]
	v_mov_b32_e32 v5, 0
                                        ; kill: def $vgpr2 killed $sgpr0 killed $exec
	s_wait_kmcnt 0x0
	s_delay_alu instid0(VALU_DEP_1)
	v_cmpx_gt_u64_e64 s[4:5], v[4:5]
	s_cbranch_execz .LBB0_23
; %bb.1:
	v_mul_hi_u32 v2, 0x24924925, v4
	v_mul_lo_u16 v1, v1, 34
	s_clause 0x1
	s_load_b64 s[12:13], s[0:1], 0x0
	s_load_b64 s[14:15], s[0:1], 0x38
	s_delay_alu instid0(VALU_DEP_1) | instskip(SKIP_1) | instid1(VALU_DEP_4)
	v_sub_nc_u16 v0, v0, v1
	v_mov_b32_e32 v1, v4
	v_sub_nc_u32_e32 v3, v4, v2
	s_delay_alu instid0(VALU_DEP_3) | instskip(SKIP_1) | instid1(VALU_DEP_3)
	v_and_b32_e32 v132, 0xffff, v0
	v_cmp_gt_u16_e32 vcc_lo, 18, v0
	v_lshrrev_b32_e32 v3, 1, v3
	s_delay_alu instid0(VALU_DEP_3) | instskip(SKIP_1) | instid1(VALU_DEP_3)
	v_lshlrev_b32_e32 v199, 4, v132
	v_or_b32_e32 v235, 0x120, v132
	v_add_nc_u32_e32 v2, v3, v2
	s_delay_alu instid0(VALU_DEP_1) | instskip(NEXT) | instid1(VALU_DEP_1)
	v_lshrrev_b32_e32 v2, 2, v2
	v_mul_lo_u32 v2, v2, 7
	scratch_store_b64 off, v[1:2], off      ; 8-byte Folded Spill
	v_sub_nc_u32_e32 v1, v4, v2
	s_delay_alu instid0(VALU_DEP_1) | instskip(NEXT) | instid1(VALU_DEP_1)
	v_mul_u32_u24_e32 v236, 0x132, v1
	v_lshlrev_b32_e32 v255, 4, v236
	s_and_saveexec_b32 s3, vcc_lo
	s_cbranch_execz .LBB0_3
; %bb.2:
	scratch_load_b64 v[0:1], off, off       ; 8-byte Folded Reload
	s_load_b64 s[4:5], s[0:1], 0x18
	s_wait_kmcnt 0x0
	s_load_b128 s[8:11], s[4:5], 0x0
	s_wait_kmcnt 0x0
	v_mad_co_u64_u32 v[60:61], null, s8, v132, 0
	v_mad_co_u64_u32 v[62:63], null, s8, v235, 0
	s_mul_u64 s[4:5], s[8:9], 0x120
	s_wait_loadcnt 0x0
	s_delay_alu instid0(VALU_DEP_2)
	v_dual_mov_b32 v33, v61 :: v_dual_mov_b32 v34, v0
	s_clause 0x7
	global_load_b128 v[0:3], v199, s[12:13]
	global_load_b128 v[4:7], v199, s[12:13] offset:288
	global_load_b128 v[8:11], v199, s[12:13] offset:576
	;; [unrolled: 1-line block ×7, first 2 shown]
	v_mad_co_u64_u32 v[56:57], null, s10, v34, 0
	v_mad_co_u64_u32 v[58:59], null, s9, v132, v[33:34]
	s_delay_alu instid0(VALU_DEP_1) | instskip(NEXT) | instid1(VALU_DEP_1)
	v_dual_mov_b32 v32, v57 :: v_dual_mov_b32 v61, v58
	v_mad_co_u64_u32 v[48:49], null, s11, v34, v[32:33]
	s_delay_alu instid0(VALU_DEP_2)
	v_lshlrev_b64_e32 v[60:61], 4, v[60:61]
	s_clause 0x3
	global_load_b128 v[32:35], v199, s[12:13] offset:2304
	global_load_b128 v[36:39], v199, s[12:13] offset:2592
	;; [unrolled: 1-line block ×4, first 2 shown]
	v_mov_b32_e32 v57, v48
	s_clause 0x1
	global_load_b128 v[48:51], v199, s[12:13] offset:3456
	global_load_b128 v[52:55], v199, s[12:13] offset:3744
	v_lshlrev_b64_e32 v[64:65], 4, v[56:57]
	global_load_b128 v[56:59], v199, s[12:13] offset:4608
	v_mad_co_u64_u32 v[66:67], null, s9, v235, v[63:64]
	v_add_co_u32 v67, s2, s6, v64
	s_delay_alu instid0(VALU_DEP_1) | instskip(NEXT) | instid1(VALU_DEP_2)
	v_add_co_ci_u32_e64 v70, s2, s7, v65, s2
	v_add_co_u32 v64, s2, v67, v60
	s_wait_alu 0xf1ff
	s_delay_alu instid0(VALU_DEP_2)
	v_add_co_ci_u32_e64 v65, s2, v70, v61, s2
	v_mov_b32_e32 v63, v66
	s_wait_alu 0xfffe
	v_add_co_u32 v68, s2, v64, s4
	s_wait_alu 0xf1ff
	v_add_co_ci_u32_e64 v69, s2, s5, v65, s2
	v_lshlrev_b64_e32 v[60:61], 4, v[62:63]
	s_delay_alu instid0(VALU_DEP_3) | instskip(SKIP_1) | instid1(VALU_DEP_3)
	v_add_co_u32 v72, s2, v68, s4
	s_wait_alu 0xf1ff
	v_add_co_ci_u32_e64 v73, s2, s5, v69, s2
	s_delay_alu instid0(VALU_DEP_3)
	v_add_co_u32 v60, s2, v67, v60
	s_wait_alu 0xf1ff
	v_add_co_ci_u32_e64 v61, s2, v70, v61, s2
	v_add_co_u32 v76, s2, v72, s4
	s_wait_alu 0xf1ff
	v_add_co_ci_u32_e64 v77, s2, s5, v73, s2
	global_load_b128 v[60:63], v[60:61], off
	v_add_co_u32 v80, s2, v76, s4
	s_wait_alu 0xf1ff
	v_add_co_ci_u32_e64 v81, s2, s5, v77, s2
	s_clause 0x1
	global_load_b128 v[64:67], v[64:65], off
	global_load_b128 v[68:71], v[68:69], off
	v_add_co_u32 v84, s2, v80, s4
	s_wait_alu 0xf1ff
	v_add_co_ci_u32_e64 v85, s2, s5, v81, s2
	s_clause 0x1
	global_load_b128 v[72:75], v[72:73], off
	global_load_b128 v[76:79], v[76:77], off
	v_add_co_u32 v88, s2, v84, s4
	s_wait_alu 0xf1ff
	v_add_co_ci_u32_e64 v89, s2, s5, v85, s2
	global_load_b128 v[80:83], v[80:81], off
	v_add_co_u32 v92, s2, v88, s4
	s_wait_alu 0xf1ff
	v_add_co_ci_u32_e64 v93, s2, s5, v89, s2
	;; [unrolled: 4-line block ×10, first 2 shown]
	global_load_b128 v[116:119], v[116:117], off
	global_load_b128 v[120:123], v[120:121], off
	s_clause 0x1
	global_load_b128 v[124:127], v199, s[12:13] offset:4032
	global_load_b128 v[128:131], v199, s[12:13] offset:4320
	global_load_b128 v[133:136], v[133:134], off
	s_wait_loadcnt 0x12
	v_mul_f64_e32 v[139:140], v[62:63], v[58:59]
	v_mul_f64_e32 v[171:172], v[60:61], v[58:59]
	s_wait_loadcnt 0x11
	v_mul_f64_e32 v[137:138], v[66:67], v[2:3]
	v_mul_f64_e32 v[2:3], v[64:65], v[2:3]
	;; [unrolled: 3-line block ×11, first 2 shown]
	v_fma_f64 v[64:65], v[64:65], v[0:1], v[137:138]
	v_fma_f64 v[66:67], v[66:67], v[0:1], -v[2:3]
	v_fma_f64 v[0:1], v[60:61], v[56:57], v[139:140]
	s_wait_loadcnt 0x7
	v_mul_f64_e32 v[159:160], v[106:107], v[42:43]
	v_mul_f64_e32 v[42:43], v[104:105], v[42:43]
	v_fma_f64 v[58:59], v[68:69], v[4:5], v[141:142]
	v_fma_f64 v[60:61], v[70:71], v[4:5], -v[6:7]
	v_fma_f64 v[4:5], v[72:73], v[8:9], v[143:144]
	s_wait_loadcnt 0x6
	v_mul_f64_e32 v[161:162], v[110:111], v[46:47]
	v_mul_f64_e32 v[46:47], v[108:109], v[46:47]
	v_fma_f64 v[6:7], v[74:75], v[8:9], -v[10:11]
	v_fma_f64 v[8:9], v[76:77], v[12:13], v[145:146]
	v_fma_f64 v[10:11], v[78:79], v[12:13], -v[14:15]
	s_wait_loadcnt 0x5
	v_mul_f64_e32 v[163:164], v[114:115], v[50:51]
	v_mul_f64_e32 v[50:51], v[112:113], v[50:51]
	s_wait_loadcnt 0x4
	v_mul_f64_e32 v[165:166], v[118:119], v[54:55]
	v_mul_f64_e32 v[54:55], v[116:117], v[54:55]
	;; [unrolled: 3-line block ×4, first 2 shown]
	v_fma_f64 v[12:13], v[80:81], v[16:17], v[147:148]
	v_fma_f64 v[14:15], v[82:83], v[16:17], -v[18:19]
	v_fma_f64 v[16:17], v[84:85], v[20:21], v[149:150]
	v_fma_f64 v[18:19], v[86:87], v[20:21], -v[22:23]
	;; [unrolled: 2-line block ×4, first 2 shown]
	v_fma_f64 v[2:3], v[62:63], v[56:57], -v[171:172]
	v_lshl_add_u32 v56, v132, 4, v255
	v_fma_f64 v[28:29], v[96:97], v[32:33], v[155:156]
	v_fma_f64 v[30:31], v[98:99], v[32:33], -v[34:35]
	v_add_nc_u32_e32 v57, v255, v199
	v_fma_f64 v[32:33], v[100:101], v[36:37], v[157:158]
	v_fma_f64 v[34:35], v[102:103], v[36:37], -v[38:39]
	v_fma_f64 v[36:37], v[104:105], v[40:41], v[159:160]
	v_fma_f64 v[38:39], v[106:107], v[40:41], -v[42:43]
	;; [unrolled: 2-line block ×7, first 2 shown]
	ds_store_b128 v56, v[64:67]
	ds_store_b128 v57, v[58:61] offset:288
	ds_store_b128 v57, v[4:7] offset:576
	;; [unrolled: 1-line block ×16, first 2 shown]
.LBB0_3:
	s_or_b32 exec_lo, exec_lo, s3
	global_wb scope:SCOPE_SE
	s_wait_storecnt_dscnt 0x0
	s_wait_kmcnt 0x0
	s_barrier_signal -1
	s_barrier_wait -1
	global_inv scope:SCOPE_SE
                                        ; implicit-def: $vgpr28_vgpr29
                                        ; implicit-def: $vgpr48_vgpr49
                                        ; implicit-def: $vgpr52_vgpr53
                                        ; implicit-def: $vgpr56_vgpr57
                                        ; implicit-def: $vgpr60_vgpr61
                                        ; implicit-def: $vgpr64_vgpr65
                                        ; implicit-def: $vgpr68_vgpr69
                                        ; implicit-def: $vgpr72_vgpr73
                                        ; implicit-def: $vgpr76_vgpr77
                                        ; implicit-def: $vgpr84_vgpr85
                                        ; implicit-def: $vgpr88_vgpr89
                                        ; implicit-def: $vgpr92_vgpr93
                                        ; implicit-def: $vgpr80_vgpr81
                                        ; implicit-def: $vgpr44_vgpr45
                                        ; implicit-def: $vgpr40_vgpr41
                                        ; implicit-def: $vgpr36_vgpr37
                                        ; implicit-def: $vgpr32_vgpr33
	s_and_saveexec_b32 s2, vcc_lo
	s_cbranch_execz .LBB0_5
; %bb.4:
	v_lshl_add_u32 v0, v236, 4, v199
	ds_load_b128 v[28:31], v0
	ds_load_b128 v[48:51], v0 offset:288
	ds_load_b128 v[52:55], v0 offset:576
	ds_load_b128 v[56:59], v0 offset:864
	ds_load_b128 v[60:63], v0 offset:1152
	ds_load_b128 v[64:67], v0 offset:1440
	ds_load_b128 v[68:71], v0 offset:1728
	ds_load_b128 v[72:75], v0 offset:2016
	ds_load_b128 v[76:79], v0 offset:2304
	ds_load_b128 v[84:87], v0 offset:2592
	ds_load_b128 v[88:91], v0 offset:2880
	ds_load_b128 v[92:95], v0 offset:3168
	ds_load_b128 v[80:83], v0 offset:3456
	ds_load_b128 v[44:47], v0 offset:3744
	ds_load_b128 v[40:43], v0 offset:4032
	ds_load_b128 v[36:39], v0 offset:4320
	ds_load_b128 v[32:35], v0 offset:4608
.LBB0_5:
	s_wait_alu 0xfffe
	s_or_b32 exec_lo, exec_lo, s2
	s_wait_dscnt 0x0
	v_add_f64_e64 v[2:3], v[50:51], -v[34:35]
	s_mov_b32 s40, 0x5d8e7cdc
	s_mov_b32 s41, 0xbfd71e95
	v_add_f64_e32 v[108:109], v[48:49], v[32:33]
	v_add_f64_e64 v[0:1], v[48:49], -v[32:33]
	v_add_f64_e64 v[114:115], v[54:55], -v[38:39]
	s_clause 0x1
	s_load_b64 s[4:5], s[0:1], 0x20
	s_load_b64 s[2:3], s[0:1], 0x8
	s_mov_b32 s0, 0x370991
	s_mov_b32 s46, 0x2a9d6da3
	;; [unrolled: 1-line block ×4, first 2 shown]
	v_add_f64_e32 v[110:111], v[50:51], v[34:35]
	v_add_f64_e32 v[104:105], v[52:53], v[36:37]
	v_add_f64_e64 v[112:113], v[52:53], -v[36:37]
	s_mov_b32 s6, 0x75d4884
	s_mov_b32 s7, 0x3fe7a5f6
	v_add_f64_e32 v[106:107], v[54:55], v[38:39]
	s_mov_b32 s42, 0xeb564b22
	s_mov_b32 s30, 0x4363dd80
	;; [unrolled: 1-line block ×21, first 2 shown]
	v_mul_f64_e32 v[4:5], s[40:41], v[2:3]
	v_mul_f64_e32 v[8:9], s[46:47], v[2:3]
	;; [unrolled: 1-line block ×12, first 2 shown]
	s_mov_b32 s17, 0xbfd183b1
	v_mul_f64_e32 v[118:119], s[46:47], v[112:113]
	s_mov_b32 s51, 0x3fe0d888
	s_mov_b32 s50, s30
	v_mul_f64_e32 v[22:23], s[24:25], v[0:1]
	s_mov_b32 s20, 0x910ea3b9
	;; [unrolled: 3-line block ×5, first 2 shown]
	s_mov_b32 s44, s40
	v_mul_f64_e32 v[0:1], s[34:35], v[0:1]
	v_add_f64_e32 v[145:146], v[56:57], v[40:41]
	v_add_f64_e32 v[149:150], v[58:59], v[42:43]
	s_mov_b32 s39, 0x3fc7851a
	s_mov_b32 s38, s34
	v_add_f64_e32 v[177:178], v[60:61], v[44:45]
	v_add_f64_e32 v[181:182], v[62:63], v[46:47]
	s_mov_b32 s53, 0x3fe9895b
	s_mov_b32 s52, s26
	v_add_f64_e64 v[120:121], v[66:67], -v[82:83]
	scratch_store_b64 off, v[4:5], off offset:8 ; 8-byte Folded Spill
	s_wait_alu 0xfffe
	v_fma_f64 v[4:5], v[108:109], s[0:1], v[4:5]
	scratch_store_b64 off, v[8:9], off offset:40 ; 8-byte Folded Spill
	v_fma_f64 v[8:9], v[108:109], s[6:7], v[8:9]
	scratch_store_b64 off, v[6:7], off offset:24 ; 8-byte Folded Spill
	v_fma_f64 v[6:7], v[110:111], s[0:1], -v[6:7]
	scratch_store_b64 off, v[116:117], off offset:136 ; 8-byte Folded Spill
	v_fma_f64 v[116:117], v[104:105], s[6:7], v[116:117]
	scratch_store_b64 off, v[10:11], off offset:56 ; 8-byte Folded Spill
	v_fma_f64 v[10:11], v[110:111], s[6:7], -v[10:11]
	s_clause 0x6
	scratch_store_b64 off, v[96:97], off offset:152
	scratch_store_b64 off, v[98:99], off offset:160
	;; [unrolled: 1-line block ×7, first 2 shown]
	v_fma_f64 v[12:13], v[108:109], s[8:9], v[12:13]
	v_fma_f64 v[14:15], v[110:111], s[8:9], -v[14:15]
	v_fma_f64 v[16:17], v[108:109], s[10:11], v[16:17]
	v_fma_f64 v[18:19], v[110:111], s[10:11], -v[18:19]
	s_clause 0x3
	scratch_store_b64 off, v[20:21], off offset:104
	scratch_store_b64 off, v[22:23], off offset:112
	;; [unrolled: 1-line block ×4, first 2 shown]
	v_fma_f64 v[20:21], v[108:109], s[16:17], v[20:21]
	v_fma_f64 v[22:23], v[110:111], s[16:17], -v[22:23]
	v_fma_f64 v[24:25], v[108:109], s[18:19], v[24:25]
	v_fma_f64 v[26:27], v[110:111], s[18:19], -v[26:27]
	;; [unrolled: 2-line block ×3, first 2 shown]
	v_fma_f64 v[100:101], v[108:109], s[22:23], -v[2:3]
	v_fma_f64 v[2:3], v[108:109], s[22:23], v[2:3]
	v_fma_f64 v[102:103], v[110:111], s[22:23], v[0:1]
	v_fma_f64 v[0:1], v[110:111], s[22:23], -v[0:1]
	v_add_f64_e32 v[209:210], v[64:65], v[80:81]
	v_add_f64_e32 v[211:212], v[66:67], v[82:83]
	v_mul_f64_e32 v[249:250], s[36:37], v[120:121]
	v_mul_f64_e32 v[245:246], s[34:35], v[120:121]
	v_add_f64_e32 v[4:5], v[28:29], v[4:5]
	v_mul_f64_e32 v[128:129], s[40:41], v[120:121]
	v_add_f64_e32 v[8:9], v[28:29], v[8:9]
	v_add_f64_e64 v[130:131], v[70:71], -v[94:95]
	v_add_f64_e32 v[6:7], v[30:31], v[6:7]
	v_add_f64_e32 v[239:240], v[68:69], v[92:93]
	;; [unrolled: 1-line block ×3, first 2 shown]
	v_add_f64_e64 v[165:166], v[74:75], -v[90:91]
	v_add_f64_e32 v[10:11], v[30:31], v[10:11]
	v_add_f64_e64 v[163:164], v[72:73], -v[88:89]
	v_add_f64_e64 v[233:234], v[78:79], -v[86:87]
	;; [unrolled: 1-line block ×3, first 2 shown]
	v_add_f64_e32 v[12:13], v[28:29], v[12:13]
	v_add_f64_e32 v[14:15], v[30:31], v[14:15]
	;; [unrolled: 1-line block ×15, first 2 shown]
	v_fma_f64 v[116:117], v[106:107], s[6:7], -v[118:119]
	v_mul_f64_e32 v[118:119], s[42:43], v[112:113]
	v_mul_f64_e32 v[151:152], s[48:49], v[130:131]
	;; [unrolled: 1-line block ×23, first 2 shown]
	v_add_f64_e32 v[6:7], v[116:117], v[6:7]
	v_mul_f64_e32 v[116:117], s[42:43], v[114:115]
	s_clause 0x1
	scratch_store_b64 off, v[118:119], off offset:224
	scratch_store_b64 off, v[116:117], off offset:216
	v_fma_f64 v[116:117], v[104:105], s[10:11], v[116:117]
	s_delay_alu instid0(VALU_DEP_1) | instskip(SKIP_2) | instid1(VALU_DEP_2)
	v_add_f64_e32 v[8:9], v[116:117], v[8:9]
	v_fma_f64 v[116:117], v[106:107], s[10:11], -v[118:119]
	v_mul_f64_e32 v[118:119], s[26:27], v[112:113]
	v_add_f64_e32 v[10:11], v[116:117], v[10:11]
	v_mul_f64_e32 v[116:117], s[26:27], v[114:115]
	s_clause 0x1
	scratch_store_b64 off, v[118:119], off offset:208
	scratch_store_b64 off, v[116:117], off offset:200
	v_fma_f64 v[116:117], v[104:105], s[18:19], v[116:117]
	s_delay_alu instid0(VALU_DEP_1) | instskip(SKIP_2) | instid1(VALU_DEP_2)
	v_add_f64_e32 v[12:13], v[116:117], v[12:13]
	v_fma_f64 v[116:117], v[106:107], s[18:19], -v[118:119]
	v_mul_f64_e32 v[118:119], s[34:35], v[112:113]
	;; [unrolled: 10-line block ×3, first 2 shown]
	v_add_f64_e32 v[18:19], v[116:117], v[18:19]
	v_mul_f64_e32 v[116:117], s[50:51], v[114:115]
	scratch_store_b64 off, v[116:117], off offset:168 ; 8-byte Folded Spill
	v_fma_f64 v[116:117], v[104:105], s[20:21], v[116:117]
	s_delay_alu instid0(VALU_DEP_1) | instskip(SKIP_1) | instid1(VALU_DEP_1)
	v_add_f64_e32 v[20:21], v[116:117], v[20:21]
	v_fma_f64 v[116:117], v[106:107], s[20:21], -v[118:119]
	v_add_f64_e32 v[22:23], v[116:117], v[22:23]
	v_mul_f64_e32 v[116:117], s[48:49], v[114:115]
	scratch_store_b64 off, v[118:119], off offset:176 ; 8-byte Folded Spill
	v_mul_f64_e32 v[118:119], s[48:49], v[112:113]
	scratch_store_b64 off, v[116:117], off offset:232 ; 8-byte Folded Spill
	v_fma_f64 v[116:117], v[104:105], s[16:17], v[116:117]
	scratch_store_b64 off, v[118:119], off offset:240 ; 8-byte Folded Spill
	v_add_f64_e32 v[24:25], v[116:117], v[24:25]
	v_fma_f64 v[116:117], v[106:107], s[16:17], -v[118:119]
	v_mul_f64_e32 v[118:119], s[28:29], v[112:113]
	v_mul_f64_e32 v[112:113], s[44:45], v[112:113]
	s_delay_alu instid0(VALU_DEP_3)
	v_add_f64_e32 v[26:27], v[116:117], v[26:27]
	v_mul_f64_e32 v[116:117], s[28:29], v[114:115]
	v_mul_f64_e32 v[114:115], s[44:45], v[114:115]
	s_clause 0x1
	scratch_store_b64 off, v[118:119], off offset:272
	scratch_store_b64 off, v[116:117], off offset:264
	v_fma_f64 v[116:117], v[104:105], s[8:9], v[116:117]
	s_delay_alu instid0(VALU_DEP_1) | instskip(SKIP_1) | instid1(VALU_DEP_1)
	v_add_f64_e32 v[96:97], v[116:117], v[96:97]
	v_fma_f64 v[116:117], v[106:107], s[8:9], -v[118:119]
	v_add_f64_e32 v[98:99], v[116:117], v[98:99]
	v_fma_f64 v[116:117], v[104:105], s[0:1], -v[114:115]
	v_fma_f64 v[114:115], v[104:105], s[0:1], v[114:115]
	s_delay_alu instid0(VALU_DEP_2) | instskip(SKIP_1) | instid1(VALU_DEP_3)
	v_add_f64_e32 v[100:101], v[116:117], v[100:101]
	v_fma_f64 v[116:117], v[106:107], s[0:1], v[112:113]
	v_add_f64_e32 v[2:3], v[114:115], v[2:3]
	v_fma_f64 v[112:113], v[106:107], s[0:1], -v[112:113]
	v_add_f64_e64 v[114:115], v[58:59], -v[42:43]
	s_delay_alu instid0(VALU_DEP_4) | instskip(NEXT) | instid1(VALU_DEP_3)
	v_add_f64_e32 v[102:103], v[116:117], v[102:103]
	v_add_f64_e32 v[0:1], v[112:113], v[0:1]
	v_add_f64_e64 v[112:113], v[56:57], -v[40:41]
	s_delay_alu instid0(VALU_DEP_4) | instskip(NEXT) | instid1(VALU_DEP_2)
	v_mul_f64_e32 v[116:117], s[36:37], v[114:115]
	v_mul_f64_e32 v[118:119], s[36:37], v[112:113]
	scratch_store_b64 off, v[116:117], off offset:248 ; 8-byte Folded Spill
	v_fma_f64 v[116:117], v[145:146], s[8:9], v[116:117]
	s_delay_alu instid0(VALU_DEP_1) | instskip(SKIP_1) | instid1(VALU_DEP_1)
	v_add_f64_e32 v[4:5], v[116:117], v[4:5]
	v_fma_f64 v[116:117], v[149:150], s[8:9], -v[118:119]
	v_add_f64_e32 v[6:7], v[116:117], v[6:7]
	v_mul_f64_e32 v[116:117], s[26:27], v[114:115]
	scratch_store_b64 off, v[118:119], off offset:256 ; 8-byte Folded Spill
	v_mul_f64_e32 v[118:119], s[26:27], v[112:113]
	scratch_store_b64 off, v[116:117], off offset:328 ; 8-byte Folded Spill
	v_fma_f64 v[116:117], v[145:146], s[18:19], v[116:117]
	scratch_store_b64 off, v[118:119], off offset:336 ; 8-byte Folded Spill
	v_add_f64_e32 v[8:9], v[116:117], v[8:9]
	v_fma_f64 v[116:117], v[149:150], s[18:19], -v[118:119]
	v_mul_f64_e32 v[118:119], s[38:39], v[112:113]
	s_delay_alu instid0(VALU_DEP_2)
	v_add_f64_e32 v[10:11], v[116:117], v[10:11]
	v_mul_f64_e32 v[116:117], s[38:39], v[114:115]
	s_mov_b32 s39, 0x3fe58eea
	s_mov_b32 s38, s46
	scratch_store_b64 off, v[118:119], off offset:320 ; 8-byte Folded Spill
	s_wait_alu 0xfffe
	v_mul_f64_e32 v[243:244], s[38:39], v[120:121]
	v_mul_f64_e32 v[253:254], s[38:39], v[165:166]
	;; [unrolled: 1-line block ×5, first 2 shown]
	scratch_store_b64 off, v[116:117], off offset:312 ; 8-byte Folded Spill
	v_fma_f64 v[116:117], v[145:146], s[22:23], v[116:117]
	v_fma_f64 v[122:123], v[209:210], s[6:7], v[243:244]
	s_delay_alu instid0(VALU_DEP_2) | instskip(SKIP_2) | instid1(VALU_DEP_2)
	v_add_f64_e32 v[12:13], v[116:117], v[12:13]
	v_fma_f64 v[116:117], v[149:150], s[22:23], -v[118:119]
	v_mul_f64_e32 v[118:119], s[48:49], v[112:113]
	v_add_f64_e32 v[14:15], v[116:117], v[14:15]
	v_mul_f64_e32 v[116:117], s[48:49], v[114:115]
	s_clause 0x1
	scratch_store_b64 off, v[118:119], off offset:304
	scratch_store_b64 off, v[116:117], off offset:296
	v_fma_f64 v[116:117], v[145:146], s[16:17], v[116:117]
	s_delay_alu instid0(VALU_DEP_1) | instskip(SKIP_2) | instid1(VALU_DEP_2)
	v_add_f64_e32 v[16:17], v[116:117], v[16:17]
	v_fma_f64 v[116:117], v[149:150], s[16:17], -v[118:119]
	v_mul_f64_e32 v[118:119], s[38:39], v[112:113]
	v_add_f64_e32 v[18:19], v[116:117], v[18:19]
	v_mul_f64_e32 v[116:117], s[38:39], v[114:115]
	scratch_store_b64 off, v[116:117], off offset:280 ; 8-byte Folded Spill
	v_fma_f64 v[116:117], v[145:146], s[6:7], v[116:117]
	s_delay_alu instid0(VALU_DEP_1) | instskip(SKIP_1) | instid1(VALU_DEP_1)
	v_add_f64_e32 v[20:21], v[116:117], v[20:21]
	v_fma_f64 v[116:117], v[149:150], s[6:7], -v[118:119]
	v_add_f64_e32 v[22:23], v[116:117], v[22:23]
	v_mul_f64_e32 v[116:117], s[40:41], v[114:115]
	scratch_store_b64 off, v[118:119], off offset:288 ; 8-byte Folded Spill
	v_mul_f64_e32 v[118:119], s[40:41], v[112:113]
	scratch_store_b64 off, v[116:117], off offset:344 ; 8-byte Folded Spill
	v_fma_f64 v[116:117], v[145:146], s[0:1], v[116:117]
	scratch_store_b64 off, v[118:119], off offset:360 ; 8-byte Folded Spill
	v_add_f64_e32 v[24:25], v[116:117], v[24:25]
	v_fma_f64 v[116:117], v[149:150], s[0:1], -v[118:119]
	v_mul_f64_e32 v[118:119], s[42:43], v[112:113]
	v_mul_f64_e32 v[112:113], s[30:31], v[112:113]
	s_delay_alu instid0(VALU_DEP_3)
	v_add_f64_e32 v[26:27], v[116:117], v[26:27]
	v_mul_f64_e32 v[116:117], s[42:43], v[114:115]
	v_mul_f64_e32 v[114:115], s[30:31], v[114:115]
	s_clause 0x1
	scratch_store_b64 off, v[118:119], off offset:384
	scratch_store_b64 off, v[116:117], off offset:376
	v_fma_f64 v[116:117], v[145:146], s[10:11], v[116:117]
	s_delay_alu instid0(VALU_DEP_1) | instskip(SKIP_1) | instid1(VALU_DEP_1)
	v_add_f64_e32 v[96:97], v[116:117], v[96:97]
	v_fma_f64 v[116:117], v[149:150], s[10:11], -v[118:119]
	v_add_f64_e32 v[98:99], v[116:117], v[98:99]
	v_fma_f64 v[116:117], v[145:146], s[20:21], -v[114:115]
	v_fma_f64 v[114:115], v[145:146], s[20:21], v[114:115]
	s_delay_alu instid0(VALU_DEP_2) | instskip(SKIP_1) | instid1(VALU_DEP_3)
	v_add_f64_e32 v[100:101], v[116:117], v[100:101]
	v_fma_f64 v[116:117], v[149:150], s[20:21], v[112:113]
	v_add_f64_e32 v[2:3], v[114:115], v[2:3]
	v_fma_f64 v[112:113], v[149:150], s[20:21], -v[112:113]
	v_add_f64_e64 v[114:115], v[62:63], -v[46:47]
	s_delay_alu instid0(VALU_DEP_4) | instskip(NEXT) | instid1(VALU_DEP_3)
	v_add_f64_e32 v[102:103], v[116:117], v[102:103]
	v_add_f64_e32 v[0:1], v[112:113], v[0:1]
	v_add_f64_e64 v[112:113], v[60:61], -v[44:45]
	s_delay_alu instid0(VALU_DEP_4) | instskip(NEXT) | instid1(VALU_DEP_2)
	v_mul_f64_e32 v[116:117], s[42:43], v[114:115]
	v_mul_f64_e32 v[118:119], s[42:43], v[112:113]
	scratch_store_b64 off, v[116:117], off offset:352 ; 8-byte Folded Spill
	v_fma_f64 v[116:117], v[177:178], s[10:11], v[116:117]
	s_delay_alu instid0(VALU_DEP_1) | instskip(SKIP_1) | instid1(VALU_DEP_1)
	v_add_f64_e32 v[4:5], v[116:117], v[4:5]
	v_fma_f64 v[116:117], v[181:182], s[10:11], -v[118:119]
	v_add_f64_e32 v[6:7], v[116:117], v[6:7]
	v_mul_f64_e32 v[116:117], s[34:35], v[114:115]
	scratch_store_b64 off, v[118:119], off offset:368 ; 8-byte Folded Spill
	v_mul_f64_e32 v[118:119], s[34:35], v[112:113]
	scratch_store_b64 off, v[116:117], off offset:440 ; 8-byte Folded Spill
	v_fma_f64 v[116:117], v[177:178], s[22:23], v[116:117]
	scratch_store_b64 off, v[118:119], off offset:448 ; 8-byte Folded Spill
	v_add_f64_e32 v[8:9], v[116:117], v[8:9]
	v_fma_f64 v[116:117], v[181:182], s[22:23], -v[118:119]
	v_mul_f64_e32 v[118:119], s[48:49], v[112:113]
	s_delay_alu instid0(VALU_DEP_2)
	v_add_f64_e32 v[10:11], v[116:117], v[10:11]
	v_mul_f64_e32 v[116:117], s[48:49], v[114:115]
	s_clause 0x1
	scratch_store_b64 off, v[118:119], off offset:432
	scratch_store_b64 off, v[116:117], off offset:424
	v_fma_f64 v[116:117], v[177:178], s[16:17], v[116:117]
	s_delay_alu instid0(VALU_DEP_1) | instskip(SKIP_2) | instid1(VALU_DEP_3)
	v_add_f64_e32 v[12:13], v[116:117], v[12:13]
	v_fma_f64 v[116:117], v[181:182], s[16:17], -v[118:119]
	v_mul_f64_e32 v[118:119], s[44:45], v[112:113]
	v_add_f64_e32 v[12:13], v[122:123], v[12:13]
	s_delay_alu instid0(VALU_DEP_3)
	v_add_f64_e32 v[14:15], v[116:117], v[14:15]
	v_mul_f64_e32 v[116:117], s[44:45], v[114:115]
	s_clause 0x1
	scratch_store_b64 off, v[118:119], off offset:416
	scratch_store_b64 off, v[116:117], off offset:408
	v_fma_f64 v[116:117], v[177:178], s[0:1], v[116:117]
	s_delay_alu instid0(VALU_DEP_1) | instskip(SKIP_2) | instid1(VALU_DEP_2)
	v_add_f64_e32 v[16:17], v[116:117], v[16:17]
	v_fma_f64 v[116:117], v[181:182], s[0:1], -v[118:119]
	v_mul_f64_e32 v[118:119], s[36:37], v[112:113]
	v_add_f64_e32 v[18:19], v[116:117], v[18:19]
	v_mul_f64_e32 v[116:117], s[36:37], v[114:115]
	scratch_store_b64 off, v[116:117], off offset:392 ; 8-byte Folded Spill
	v_fma_f64 v[116:117], v[177:178], s[8:9], v[116:117]
	s_delay_alu instid0(VALU_DEP_1) | instskip(SKIP_1) | instid1(VALU_DEP_1)
	v_add_f64_e32 v[20:21], v[116:117], v[20:21]
	v_fma_f64 v[116:117], v[181:182], s[8:9], -v[118:119]
	v_add_f64_e32 v[22:23], v[116:117], v[22:23]
	v_mul_f64_e32 v[116:117], s[30:31], v[114:115]
	scratch_store_b64 off, v[118:119], off offset:400 ; 8-byte Folded Spill
	v_mul_f64_e32 v[118:119], s[30:31], v[112:113]
	scratch_store_b64 off, v[116:117], off offset:472 ; 8-byte Folded Spill
	v_fma_f64 v[116:117], v[177:178], s[20:21], v[116:117]
	scratch_store_b64 off, v[118:119], off offset:480 ; 8-byte Folded Spill
	v_add_f64_e32 v[24:25], v[116:117], v[24:25]
	v_fma_f64 v[116:117], v[181:182], s[20:21], -v[118:119]
	v_mul_f64_e32 v[118:119], s[52:53], v[112:113]
	v_mul_f64_e32 v[112:113], s[38:39], v[112:113]
	s_delay_alu instid0(VALU_DEP_3)
	v_add_f64_e32 v[26:27], v[116:117], v[26:27]
	v_mul_f64_e32 v[116:117], s[52:53], v[114:115]
	v_mul_f64_e32 v[114:115], s[38:39], v[114:115]
	s_clause 0x1
	scratch_store_b64 off, v[118:119], off offset:496
	scratch_store_b64 off, v[116:117], off offset:488
	v_fma_f64 v[116:117], v[177:178], s[18:19], v[116:117]
	s_delay_alu instid0(VALU_DEP_1) | instskip(SKIP_2) | instid1(VALU_DEP_2)
	v_add_f64_e32 v[96:97], v[116:117], v[96:97]
	v_fma_f64 v[116:117], v[181:182], s[18:19], -v[118:119]
	v_add_f64_e64 v[118:119], v[64:65], -v[80:81]
	v_add_f64_e32 v[98:99], v[116:117], v[98:99]
	v_fma_f64 v[116:117], v[177:178], s[6:7], -v[114:115]
	v_fma_f64 v[114:115], v[177:178], s[6:7], v[114:115]
	s_delay_alu instid0(VALU_DEP_4)
	v_mul_f64_e32 v[251:252], s[36:37], v[118:119]
	v_mul_f64_e32 v[247:248], s[34:35], v[118:119]
	s_mov_b32 s37, 0x3fefdd0d
	s_mov_b32 s36, s42
	v_mul_f64_e32 v[133:134], s[40:41], v[118:119]
	s_wait_alu 0xfffe
	v_mul_f64_e32 v[124:125], s[36:37], v[118:119]
	v_add_f64_e32 v[100:101], v[116:117], v[100:101]
	v_fma_f64 v[116:117], v[181:182], s[6:7], v[112:113]
	v_fma_f64 v[112:113], v[181:182], s[6:7], -v[112:113]
	v_add_f64_e32 v[2:3], v[114:115], v[2:3]
	v_mul_f64_e32 v[114:115], s[24:25], v[118:119]
	s_delay_alu instid0(VALU_DEP_4) | instskip(NEXT) | instid1(VALU_DEP_4)
	v_add_f64_e32 v[102:103], v[116:117], v[102:103]
	v_add_f64_e32 v[0:1], v[112:113], v[0:1]
	v_mul_f64_e32 v[112:113], s[24:25], v[120:121]
	scratch_store_b64 off, v[114:115], off offset:464 ; 8-byte Folded Spill
	v_mul_f64_e32 v[116:117], s[50:51], v[118:119]
	scratch_store_b64 off, v[112:113], off offset:456 ; 8-byte Folded Spill
	v_fma_f64 v[112:113], v[209:210], s[16:17], v[112:113]
	global_wb scope:SCOPE_SE
	s_wait_storecnt 0x0
	s_wait_kmcnt 0x0
	s_barrier_signal -1
	s_barrier_wait -1
	global_inv scope:SCOPE_SE
	v_add_f64_e32 v[4:5], v[112:113], v[4:5]
	v_fma_f64 v[112:113], v[211:212], s[16:17], -v[114:115]
	v_mul_f64_e32 v[114:115], s[50:51], v[120:121]
	s_delay_alu instid0(VALU_DEP_2) | instskip(NEXT) | instid1(VALU_DEP_2)
	v_add_f64_e32 v[6:7], v[112:113], v[6:7]
	v_fma_f64 v[112:113], v[209:210], s[20:21], v[114:115]
	s_delay_alu instid0(VALU_DEP_1) | instskip(SKIP_1) | instid1(VALU_DEP_1)
	v_add_f64_e32 v[8:9], v[112:113], v[8:9]
	v_fma_f64 v[112:113], v[211:212], s[20:21], -v[116:117]
	v_add_f64_e32 v[10:11], v[112:113], v[10:11]
	v_mul_f64_e32 v[112:113], s[38:39], v[118:119]
	v_mul_f64_e32 v[118:119], s[26:27], v[118:119]
	s_delay_alu instid0(VALU_DEP_2) | instskip(NEXT) | instid1(VALU_DEP_1)
	v_fma_f64 v[122:123], v[211:212], s[6:7], -v[112:113]
	v_add_f64_e32 v[14:15], v[122:123], v[14:15]
	v_fma_f64 v[122:123], v[209:210], s[8:9], v[249:250]
	s_delay_alu instid0(VALU_DEP_1) | instskip(SKIP_1) | instid1(VALU_DEP_1)
	v_add_f64_e32 v[16:17], v[122:123], v[16:17]
	v_fma_f64 v[122:123], v[211:212], s[8:9], -v[251:252]
	v_add_f64_e32 v[18:19], v[122:123], v[18:19]
	v_fma_f64 v[122:123], v[209:210], s[22:23], v[245:246]
	s_delay_alu instid0(VALU_DEP_1) | instskip(SKIP_1) | instid1(VALU_DEP_1)
	v_add_f64_e32 v[20:21], v[122:123], v[20:21]
	v_fma_f64 v[122:123], v[211:212], s[22:23], -v[247:248]
	v_add_f64_e32 v[22:23], v[122:123], v[22:23]
	v_mul_f64_e32 v[122:123], s[36:37], v[120:121]
	v_mul_f64_e32 v[120:121], s[26:27], v[120:121]
	s_delay_alu instid0(VALU_DEP_2) | instskip(NEXT) | instid1(VALU_DEP_1)
	v_fma_f64 v[126:127], v[209:210], s[10:11], v[122:123]
	v_add_f64_e32 v[24:25], v[126:127], v[24:25]
	v_fma_f64 v[126:127], v[211:212], s[10:11], -v[124:125]
	s_delay_alu instid0(VALU_DEP_1) | instskip(SKIP_1) | instid1(VALU_DEP_1)
	v_add_f64_e32 v[26:27], v[126:127], v[26:27]
	v_fma_f64 v[126:127], v[209:210], s[0:1], v[128:129]
	v_add_f64_e32 v[96:97], v[126:127], v[96:97]
	v_fma_f64 v[126:127], v[211:212], s[0:1], -v[133:134]
	s_delay_alu instid0(VALU_DEP_1) | instskip(SKIP_2) | instid1(VALU_DEP_2)
	v_add_f64_e32 v[98:99], v[126:127], v[98:99]
	v_fma_f64 v[126:127], v[209:210], s[18:19], -v[120:121]
	v_fma_f64 v[120:121], v[209:210], s[18:19], v[120:121]
	v_add_f64_e32 v[100:101], v[126:127], v[100:101]
	v_fma_f64 v[126:127], v[211:212], s[18:19], v[118:119]
	v_fma_f64 v[118:119], v[211:212], s[18:19], -v[118:119]
	s_delay_alu instid0(VALU_DEP_4) | instskip(NEXT) | instid1(VALU_DEP_3)
	v_add_f64_e32 v[2:3], v[120:121], v[2:3]
	v_add_f64_e32 v[102:103], v[126:127], v[102:103]
	s_delay_alu instid0(VALU_DEP_3) | instskip(SKIP_2) | instid1(VALU_DEP_2)
	v_add_f64_e32 v[0:1], v[118:119], v[0:1]
	v_add_f64_e64 v[126:127], v[68:69], -v[92:93]
	v_mul_f64_e32 v[118:119], s[26:27], v[130:131]
	v_mul_f64_e32 v[120:121], s[26:27], v[126:127]
	s_delay_alu instid0(VALU_DEP_2)
	v_fma_f64 v[135:136], v[239:240], s[18:19], v[118:119]
	v_mul_f64_e32 v[153:154], s[48:49], v[126:127]
	v_mul_f64_e32 v[147:148], s[40:41], v[126:127]
	;; [unrolled: 1-line block ×7, first 2 shown]
	v_add_f64_e32 v[4:5], v[135:136], v[4:5]
	v_fma_f64 v[135:136], v[241:242], s[18:19], -v[120:121]
	s_delay_alu instid0(VALU_DEP_1) | instskip(SKIP_1) | instid1(VALU_DEP_1)
	v_add_f64_e32 v[6:7], v[135:136], v[6:7]
	v_fma_f64 v[135:136], v[239:240], s[16:17], v[151:152]
	v_add_f64_e32 v[8:9], v[135:136], v[8:9]
	v_fma_f64 v[135:136], v[241:242], s[16:17], -v[153:154]
	s_delay_alu instid0(VALU_DEP_1) | instskip(SKIP_1) | instid1(VALU_DEP_1)
	v_add_f64_e32 v[10:11], v[135:136], v[10:11]
	v_fma_f64 v[135:136], v[239:240], s[0:1], v[143:144]
	;; [unrolled: 5-line block ×3, first 2 shown]
	v_add_f64_e32 v[16:17], v[135:136], v[16:17]
	v_fma_f64 v[135:136], v[241:242], s[20:21], -v[141:142]
	s_delay_alu instid0(VALU_DEP_1) | instskip(SKIP_2) | instid1(VALU_DEP_2)
	v_add_f64_e32 v[18:19], v[135:136], v[18:19]
	v_mul_f64_e32 v[135:136], s[36:37], v[130:131]
	v_mul_f64_e32 v[130:131], s[28:29], v[130:131]
	v_fma_f64 v[155:156], v[239:240], s[10:11], v[135:136]
	s_delay_alu instid0(VALU_DEP_1) | instskip(SKIP_1) | instid1(VALU_DEP_1)
	v_add_f64_e32 v[20:21], v[155:156], v[20:21]
	v_fma_f64 v[155:156], v[241:242], s[10:11], -v[137:138]
	v_add_f64_e32 v[22:23], v[155:156], v[22:23]
	v_fma_f64 v[155:156], v[239:240], s[6:7], v[159:160]
	s_delay_alu instid0(VALU_DEP_1) | instskip(SKIP_1) | instid1(VALU_DEP_1)
	v_add_f64_e32 v[24:25], v[155:156], v[24:25]
	v_fma_f64 v[155:156], v[241:242], s[6:7], -v[161:162]
	v_add_f64_e32 v[26:27], v[155:156], v[26:27]
	;; [unrolled: 5-line block ×3, first 2 shown]
	v_fma_f64 v[155:156], v[239:240], s[8:9], -v[130:131]
	v_fma_f64 v[130:131], v[239:240], s[8:9], v[130:131]
	s_delay_alu instid0(VALU_DEP_2) | instskip(SKIP_2) | instid1(VALU_DEP_4)
	v_add_f64_e32 v[100:101], v[155:156], v[100:101]
	v_fma_f64 v[155:156], v[241:242], s[8:9], v[126:127]
	v_fma_f64 v[126:127], v[241:242], s[8:9], -v[126:127]
	v_add_f64_e32 v[2:3], v[130:131], v[2:3]
	v_add_f64_e32 v[130:131], v[74:75], v[90:91]
	s_delay_alu instid0(VALU_DEP_4) | instskip(NEXT) | instid1(VALU_DEP_4)
	v_add_f64_e32 v[102:103], v[155:156], v[102:103]
	v_add_f64_e32 v[0:1], v[126:127], v[0:1]
	;; [unrolled: 1-line block ×3, first 2 shown]
	v_mul_f64_e32 v[155:156], s[30:31], v[165:166]
	s_delay_alu instid0(VALU_DEP_1) | instskip(NEXT) | instid1(VALU_DEP_1)
	v_fma_f64 v[169:170], v[126:127], s[20:21], v[155:156]
	v_add_f64_e32 v[4:5], v[169:170], v[4:5]
	v_fma_f64 v[169:170], v[130:131], s[20:21], -v[157:158]
	s_delay_alu instid0(VALU_DEP_1) | instskip(SKIP_1) | instid1(VALU_DEP_1)
	v_add_f64_e32 v[6:7], v[169:170], v[6:7]
	v_fma_f64 v[169:170], v[126:127], s[8:9], v[187:188]
	v_add_f64_e32 v[207:208], v[169:170], v[8:9]
	v_fma_f64 v[8:9], v[130:131], s[8:9], -v[189:190]
	v_mul_f64_e32 v[169:170], s[40:41], v[165:166]
	v_mul_f64_e32 v[165:166], s[24:25], v[165:166]
	s_delay_alu instid0(VALU_DEP_3) | instskip(SKIP_2) | instid1(VALU_DEP_2)
	v_add_f64_e32 v[213:214], v[8:9], v[10:11]
	v_fma_f64 v[8:9], v[126:127], s[10:11], v[183:184]
	v_fma_f64 v[10:11], v[130:131], s[10:11], -v[185:186]
	v_add_f64_e32 v[8:9], v[8:9], v[12:13]
	v_fma_f64 v[12:13], v[126:127], s[18:19], v[175:176]
	s_delay_alu instid0(VALU_DEP_3) | instskip(SKIP_1) | instid1(VALU_DEP_3)
	v_add_f64_e32 v[10:11], v[10:11], v[14:15]
	v_fma_f64 v[14:15], v[130:131], s[18:19], -v[179:180]
	v_add_f64_e32 v[12:13], v[12:13], v[16:17]
	v_fma_f64 v[16:17], v[126:127], s[0:1], v[169:170]
	s_delay_alu instid0(VALU_DEP_3) | instskip(SKIP_1) | instid1(VALU_DEP_3)
	v_add_f64_e32 v[14:15], v[14:15], v[18:19]
	;; [unrolled: 5-line block ×4, first 2 shown]
	v_fma_f64 v[26:27], v[130:131], s[6:7], -v[201:202]
	v_add_f64_e32 v[24:25], v[24:25], v[96:97]
	v_fma_f64 v[96:97], v[126:127], s[16:17], -v[165:166]
	s_delay_alu instid0(VALU_DEP_3) | instskip(SKIP_1) | instid1(VALU_DEP_3)
	v_add_f64_e32 v[26:27], v[26:27], v[98:99]
	v_fma_f64 v[98:99], v[130:131], s[16:17], v[163:164]
	v_add_f64_e32 v[96:97], v[96:97], v[100:101]
	v_fma_f64 v[100:101], v[126:127], s[16:17], v[165:166]
	s_delay_alu instid0(VALU_DEP_3) | instskip(SKIP_1) | instid1(VALU_DEP_3)
	v_add_f64_e32 v[98:99], v[98:99], v[102:103]
	v_add_f64_e32 v[165:166], v[78:79], v[86:87]
	;; [unrolled: 1-line block ×3, first 2 shown]
	v_fma_f64 v[2:3], v[130:131], s[16:17], -v[163:164]
	v_add_f64_e32 v[163:164], v[76:77], v[84:85]
	s_delay_alu instid0(VALU_DEP_2) | instskip(NEXT) | instid1(VALU_DEP_2)
	v_add_f64_e32 v[102:103], v[2:3], v[0:1]
	v_fma_f64 v[0:1], v[163:164], s[22:23], v[193:194]
	v_fma_f64 v[2:3], v[165:166], s[22:23], -v[197:198]
	s_delay_alu instid0(VALU_DEP_2) | instskip(SKIP_1) | instid1(VALU_DEP_3)
	v_add_f64_e32 v[0:1], v[0:1], v[4:5]
	v_fma_f64 v[4:5], v[163:164], s[0:1], v[203:204]
	v_add_f64_e32 v[2:3], v[2:3], v[6:7]
	v_fma_f64 v[6:7], v[165:166], s[0:1], -v[205:206]
	s_delay_alu instid0(VALU_DEP_3) | instskip(SKIP_1) | instid1(VALU_DEP_3)
	v_add_f64_e32 v[4:5], v[4:5], v[207:208]
	v_mul_f64_e32 v[207:208], s[30:31], v[233:234]
	v_add_f64_e32 v[6:7], v[6:7], v[213:214]
	v_mul_f64_e32 v[213:214], s[30:31], v[227:228]
	v_mul_f64_e32 v[227:228], s[36:37], v[227:228]
	s_delay_alu instid0(VALU_DEP_4) | instskip(NEXT) | instid1(VALU_DEP_1)
	v_fma_f64 v[215:216], v[163:164], s[20:21], v[207:208]
	v_add_f64_e32 v[8:9], v[215:216], v[8:9]
	s_delay_alu instid0(VALU_DEP_4) | instskip(NEXT) | instid1(VALU_DEP_1)
	v_fma_f64 v[215:216], v[165:166], s[20:21], -v[213:214]
	v_add_f64_e32 v[10:11], v[215:216], v[10:11]
	v_mul_f64_e32 v[215:216], s[38:39], v[233:234]
	s_delay_alu instid0(VALU_DEP_1) | instskip(NEXT) | instid1(VALU_DEP_1)
	v_fma_f64 v[219:220], v[163:164], s[6:7], v[215:216]
	v_add_f64_e32 v[12:13], v[219:220], v[12:13]
	v_fma_f64 v[219:220], v[165:166], s[6:7], -v[217:218]
	s_delay_alu instid0(VALU_DEP_1) | instskip(SKIP_1) | instid1(VALU_DEP_1)
	v_add_f64_e32 v[14:15], v[219:220], v[14:15]
	v_mul_f64_e32 v[219:220], s[26:27], v[233:234]
	v_fma_f64 v[223:224], v[163:164], s[18:19], v[219:220]
	s_delay_alu instid0(VALU_DEP_1) | instskip(SKIP_1) | instid1(VALU_DEP_1)
	v_add_f64_e32 v[16:17], v[223:224], v[16:17]
	v_fma_f64 v[223:224], v[165:166], s[18:19], -v[221:222]
	v_add_f64_e32 v[18:19], v[223:224], v[18:19]
	v_mul_f64_e32 v[223:224], s[28:29], v[233:234]
	s_delay_alu instid0(VALU_DEP_1) | instskip(NEXT) | instid1(VALU_DEP_1)
	v_fma_f64 v[229:230], v[163:164], s[8:9], v[223:224]
	v_add_f64_e32 v[20:21], v[229:230], v[20:21]
	v_fma_f64 v[229:230], v[165:166], s[8:9], -v[225:226]
	s_delay_alu instid0(VALU_DEP_1) | instskip(SKIP_2) | instid1(VALU_DEP_2)
	v_add_f64_e32 v[22:23], v[229:230], v[22:23]
	v_mul_f64_e32 v[229:230], s[24:25], v[233:234]
	v_mul_f64_e32 v[233:234], s[36:37], v[233:234]
	v_fma_f64 v[237:238], v[163:164], s[16:17], v[229:230]
	s_delay_alu instid0(VALU_DEP_1) | instskip(SKIP_1) | instid1(VALU_DEP_1)
	v_add_f64_e32 v[24:25], v[237:238], v[24:25]
	v_fma_f64 v[237:238], v[165:166], s[16:17], -v[231:232]
	v_add_f64_e32 v[26:27], v[237:238], v[26:27]
	v_fma_f64 v[237:238], v[163:164], s[10:11], -v[233:234]
	v_fma_f64 v[233:234], v[163:164], s[10:11], v[233:234]
	s_delay_alu instid0(VALU_DEP_2) | instskip(SKIP_2) | instid1(VALU_DEP_4)
	v_add_f64_e32 v[96:97], v[237:238], v[96:97]
	v_fma_f64 v[237:238], v[165:166], s[10:11], v[227:228]
	v_fma_f64 v[227:228], v[165:166], s[10:11], -v[227:228]
	v_add_f64_e32 v[100:101], v[233:234], v[100:101]
	s_delay_alu instid0(VALU_DEP_3) | instskip(NEXT) | instid1(VALU_DEP_3)
	v_add_f64_e32 v[98:99], v[237:238], v[98:99]
	v_add_f64_e32 v[102:103], v[227:228], v[102:103]
	v_mul_lo_u16 v227, v132, 17
	s_and_saveexec_b32 s24, vcc_lo
	s_cbranch_execz .LBB0_7
; %bb.6:
	v_add_f64_e32 v[50:51], v[30:31], v[50:51]
	v_add_f64_e32 v[48:49], v[28:29], v[48:49]
	s_delay_alu instid0(VALU_DEP_2) | instskip(NEXT) | instid1(VALU_DEP_2)
	v_add_f64_e32 v[50:51], v[50:51], v[54:55]
	v_add_f64_e32 v[48:49], v[48:49], v[52:53]
	s_clause 0x1
	scratch_load_b64 v[52:53], off, off offset:88 th:TH_LOAD_LU
	scratch_load_b64 v[54:55], off, off offset:72 th:TH_LOAD_LU
	v_add_f64_e32 v[50:51], v[50:51], v[58:59]
	v_add_f64_e32 v[48:49], v[48:49], v[56:57]
	s_clause 0x1
	scratch_load_b64 v[56:57], off, off offset:64 th:TH_LOAD_LU
	scratch_load_b64 v[58:59], off, off offset:56 th:TH_LOAD_LU
	v_add_f64_e32 v[50:51], v[50:51], v[62:63]
	v_add_f64_e32 v[48:49], v[48:49], v[60:61]
	s_clause 0x1
	scratch_load_b64 v[60:61], off, off offset:40 th:TH_LOAD_LU
	scratch_load_b64 v[62:63], off, off offset:24 th:TH_LOAD_LU
	v_add_f64_e32 v[50:51], v[50:51], v[66:67]
	v_add_f64_e32 v[48:49], v[48:49], v[64:65]
	scratch_load_b64 v[64:65], off, off offset:8 th:TH_LOAD_LU ; 8-byte Folded Reload
	v_add_f64_e32 v[50:51], v[50:51], v[70:71]
	v_add_f64_e32 v[48:49], v[48:49], v[68:69]
	s_clause 0x1
	scratch_load_b64 v[70:71], off, off offset:272 th:TH_LOAD_LU
	scratch_load_b64 v[68:69], off, off offset:384 th:TH_LOAD_LU
	v_add_f64_e32 v[50:51], v[50:51], v[74:75]
	v_add_f64_e32 v[48:49], v[48:49], v[72:73]
	v_mul_f64_e32 v[74:75], s[8:9], v[104:105]
	v_mul_f64_e32 v[72:73], s[0:1], v[209:210]
	s_delay_alu instid0(VALU_DEP_4) | instskip(NEXT) | instid1(VALU_DEP_4)
	v_add_f64_e32 v[50:51], v[50:51], v[78:79]
	v_add_f64_e32 v[48:49], v[48:49], v[76:77]
	scratch_load_b64 v[76:77], off, off offset:264 th:TH_LOAD_LU ; 8-byte Folded Reload
	v_add_f64_e64 v[72:73], v[72:73], -v[128:129]
	v_add_f64_e32 v[50:51], v[50:51], v[86:87]
	v_add_f64_e32 v[48:49], v[48:49], v[84:85]
	s_delay_alu instid0(VALU_DEP_2) | instskip(NEXT) | instid1(VALU_DEP_2)
	v_add_f64_e32 v[50:51], v[50:51], v[90:91]
	v_add_f64_e32 v[48:49], v[48:49], v[88:89]
	s_delay_alu instid0(VALU_DEP_2) | instskip(NEXT) | instid1(VALU_DEP_2)
	;; [unrolled: 3-line block ×4, first 2 shown]
	v_add_f64_e32 v[46:47], v[50:51], v[46:47]
	v_add_f64_e32 v[44:45], v[48:49], v[44:45]
	s_clause 0x1
	scratch_load_b64 v[48:49], off, off offset:104 th:TH_LOAD_LU
	scratch_load_b64 v[50:51], off, off offset:96 th:TH_LOAD_LU
	v_add_f64_e32 v[42:43], v[46:47], v[42:43]
	v_add_f64_e32 v[40:41], v[44:45], v[40:41]
	s_clause 0x1
	scratch_load_b64 v[44:45], off, off offset:120 th:TH_LOAD_LU
	scratch_load_b64 v[46:47], off, off offset:112 th:TH_LOAD_LU
	;; [unrolled: 5-line block ×3, first 2 shown]
	v_add_f64_e32 v[34:35], v[38:39], v[34:35]
	scratch_load_b64 v[38:39], off, off offset:160 th:TH_LOAD_LU ; 8-byte Folded Reload
	v_add_f64_e32 v[32:33], v[36:37], v[32:33]
	v_mul_f64_e32 v[36:37], s[20:21], v[110:111]
	s_wait_loadcnt 0x7
	v_add_f64_e64 v[74:75], v[74:75], -v[76:77]
	v_mul_f64_e32 v[76:77], s[10:11], v[145:146]
	s_wait_loadcnt 0x0
	s_delay_alu instid0(VALU_DEP_3) | instskip(SKIP_1) | instid1(VALU_DEP_2)
	v_add_f64_e32 v[36:37], v[38:39], v[36:37]
	v_mul_f64_e32 v[38:39], s[20:21], v[108:109]
	v_add_f64_e32 v[36:37], v[30:31], v[36:37]
	s_delay_alu instid0(VALU_DEP_2) | instskip(SKIP_1) | instid1(VALU_DEP_2)
	v_add_f64_e64 v[38:39], v[38:39], -v[40:41]
	v_mul_f64_e32 v[40:41], s[18:19], v[110:111]
	v_add_f64_e32 v[38:39], v[28:29], v[38:39]
	s_delay_alu instid0(VALU_DEP_2) | instskip(SKIP_1) | instid1(VALU_DEP_3)
	v_add_f64_e32 v[40:41], v[42:43], v[40:41]
	v_mul_f64_e32 v[42:43], s[18:19], v[108:109]
	v_add_f64_e32 v[38:39], v[74:75], v[38:39]
	s_delay_alu instid0(VALU_DEP_3) | instskip(NEXT) | instid1(VALU_DEP_3)
	v_add_f64_e32 v[40:41], v[30:31], v[40:41]
	v_add_f64_e64 v[42:43], v[42:43], -v[44:45]
	v_mul_f64_e32 v[44:45], s[16:17], v[110:111]
	s_clause 0x1
	scratch_load_b64 v[74:75], off, off offset:488 th:TH_LOAD_LU
	scratch_load_b64 v[78:79], off, off offset:376 th:TH_LOAD_LU
	v_add_f64_e32 v[42:43], v[28:29], v[42:43]
	v_add_f64_e32 v[44:45], v[46:47], v[44:45]
	v_mul_f64_e32 v[46:47], s[16:17], v[108:109]
	s_delay_alu instid0(VALU_DEP_1) | instskip(SKIP_1) | instid1(VALU_DEP_2)
	v_add_f64_e64 v[46:47], v[46:47], -v[48:49]
	v_mul_f64_e32 v[48:49], s[10:11], v[110:111]
	v_add_f64_e32 v[66:67], v[28:29], v[46:47]
	s_delay_alu instid0(VALU_DEP_2) | instskip(SKIP_1) | instid1(VALU_DEP_2)
	v_add_f64_e32 v[48:49], v[50:51], v[48:49]
	v_mul_f64_e32 v[50:51], s[10:11], v[108:109]
	v_add_f64_e32 v[48:49], v[30:31], v[48:49]
	s_delay_alu instid0(VALU_DEP_2) | instskip(SKIP_1) | instid1(VALU_DEP_2)
	v_add_f64_e64 v[50:51], v[50:51], -v[52:53]
	v_mul_f64_e32 v[52:53], s[8:9], v[110:111]
	v_add_f64_e32 v[50:51], v[28:29], v[50:51]
	s_delay_alu instid0(VALU_DEP_2) | instskip(SKIP_1) | instid1(VALU_DEP_1)
	v_add_f64_e32 v[52:53], v[54:55], v[52:53]
	v_mul_f64_e32 v[54:55], s[8:9], v[108:109]
	v_add_f64_e64 v[54:55], v[54:55], -v[56:57]
	v_mul_f64_e32 v[56:57], s[6:7], v[110:111]
	s_delay_alu instid0(VALU_DEP_2) | instskip(NEXT) | instid1(VALU_DEP_2)
	v_add_f64_e32 v[46:47], v[28:29], v[54:55]
	v_add_f64_e32 v[56:57], v[58:59], v[56:57]
	v_mul_f64_e32 v[58:59], s[6:7], v[108:109]
	s_delay_alu instid0(VALU_DEP_1) | instskip(SKIP_3) | instid1(VALU_DEP_3)
	v_add_f64_e64 v[58:59], v[58:59], -v[60:61]
	v_mul_f64_e32 v[60:61], s[0:1], v[110:111]
	s_wait_loadcnt 0x0
	v_add_f64_e64 v[76:77], v[76:77], -v[78:79]
	v_add_f64_e32 v[54:55], v[28:29], v[58:59]
	s_delay_alu instid0(VALU_DEP_3) | instskip(SKIP_1) | instid1(VALU_DEP_4)
	v_add_f64_e32 v[60:61], v[62:63], v[60:61]
	v_mul_f64_e32 v[62:63], s[0:1], v[108:109]
	v_add_f64_e32 v[38:39], v[76:77], v[38:39]
	s_delay_alu instid0(VALU_DEP_2)
	v_add_f64_e64 v[62:63], v[62:63], -v[64:65]
	v_add_f64_e32 v[64:65], v[30:31], v[44:45]
	v_add_f64_e32 v[44:45], v[30:31], v[52:53]
	;; [unrolled: 1-line block ×4, first 2 shown]
	v_mul_f64_e32 v[60:61], s[18:19], v[181:182]
	v_mul_f64_e32 v[30:31], s[0:1], v[211:212]
	v_add_f64_e32 v[58:59], v[28:29], v[62:63]
	scratch_load_b64 v[62:63], off, off offset:496 th:TH_LOAD_LU ; 8-byte Folded Reload
	v_mul_f64_e32 v[28:29], s[22:23], v[241:242]
	v_add_f64_e32 v[30:31], v[133:134], v[30:31]
	s_delay_alu instid0(VALU_DEP_2) | instskip(SKIP_3) | instid1(VALU_DEP_1)
	v_add_f64_e32 v[28:29], v[173:174], v[28:29]
	s_wait_loadcnt 0x0
	v_add_f64_e32 v[60:61], v[62:63], v[60:61]
	v_mul_f64_e32 v[62:63], s[10:11], v[149:150]
	v_add_f64_e32 v[62:63], v[68:69], v[62:63]
	v_mul_f64_e32 v[68:69], s[8:9], v[106:107]
	s_delay_alu instid0(VALU_DEP_1) | instskip(SKIP_1) | instid1(VALU_DEP_2)
	v_add_f64_e32 v[68:69], v[70:71], v[68:69]
	v_mul_f64_e32 v[70:71], s[22:23], v[239:240]
	v_add_f64_e32 v[36:37], v[68:69], v[36:37]
	v_mul_f64_e32 v[68:69], s[18:19], v[177:178]
	s_delay_alu instid0(VALU_DEP_3) | instskip(NEXT) | instid1(VALU_DEP_3)
	v_add_f64_e64 v[70:71], v[70:71], -v[167:168]
	v_add_f64_e32 v[36:37], v[62:63], v[36:37]
	s_delay_alu instid0(VALU_DEP_3)
	v_add_f64_e64 v[68:69], v[68:69], -v[74:75]
	v_mul_f64_e32 v[62:63], s[6:7], v[130:131]
	s_clause 0x1
	scratch_load_b64 v[74:75], off, off offset:344 th:TH_LOAD_LU
	scratch_load_b64 v[76:77], off, off offset:232 th:TH_LOAD_LU
	v_add_f64_e32 v[36:37], v[60:61], v[36:37]
	v_add_f64_e32 v[38:39], v[68:69], v[38:39]
	v_mul_f64_e32 v[60:61], s[6:7], v[126:127]
	v_add_f64_e32 v[62:63], v[201:202], v[62:63]
	scratch_load_b64 v[68:69], off, off offset:240 th:TH_LOAD_LU ; 8-byte Folded Reload
	v_add_f64_e32 v[30:31], v[30:31], v[36:37]
	v_add_f64_e32 v[36:37], v[72:73], v[38:39]
	v_add_f64_e64 v[60:61], v[60:61], -v[253:254]
	v_mul_f64_e32 v[38:39], s[16:17], v[165:166]
	scratch_load_b64 v[72:73], off, off offset:472 th:TH_LOAD_LU ; 8-byte Folded Reload
	v_add_f64_e32 v[28:29], v[28:29], v[30:31]
	v_add_f64_e32 v[30:31], v[70:71], v[36:37]
	v_mul_f64_e32 v[36:37], s[16:17], v[163:164]
	v_add_f64_e32 v[38:39], v[231:232], v[38:39]
	v_mul_f64_e32 v[70:71], s[20:21], v[177:178]
	v_add_f64_e32 v[28:29], v[62:63], v[28:29]
	v_add_f64_e32 v[60:61], v[60:61], v[30:31]
	v_add_f64_e64 v[36:37], v[36:37], -v[229:230]
	scratch_load_b64 v[62:63], off, off offset:360 th:TH_LOAD_LU ; 8-byte Folded Reload
	v_add_f64_e32 v[30:31], v[38:39], v[28:29]
	v_mul_f64_e32 v[38:39], s[20:21], v[181:182]
	v_add_f64_e32 v[28:29], v[36:37], v[60:61]
	scratch_load_b64 v[60:61], off, off offset:480 th:TH_LOAD_LU ; 8-byte Folded Reload
	v_mul_f64_e32 v[36:37], s[10:11], v[211:212]
	s_delay_alu instid0(VALU_DEP_1) | instskip(SKIP_3) | instid1(VALU_DEP_1)
	v_add_f64_e32 v[36:37], v[124:125], v[36:37]
	s_wait_loadcnt 0x2
	v_add_f64_e64 v[70:71], v[70:71], -v[72:73]
	v_mul_f64_e32 v[72:73], s[0:1], v[145:146]
	v_add_f64_e64 v[72:73], v[72:73], -v[74:75]
	v_mul_f64_e32 v[74:75], s[16:17], v[104:105]
	s_delay_alu instid0(VALU_DEP_1) | instskip(SKIP_4) | instid1(VALU_DEP_4)
	v_add_f64_e64 v[74:75], v[74:75], -v[76:77]
	v_mul_f64_e32 v[76:77], s[6:7], v[241:242]
	s_wait_loadcnt 0x0
	v_add_f64_e32 v[38:39], v[60:61], v[38:39]
	v_mul_f64_e32 v[60:61], s[0:1], v[149:150]
	v_add_f64_e32 v[42:43], v[74:75], v[42:43]
	s_delay_alu instid0(VALU_DEP_4) | instskip(SKIP_1) | instid1(VALU_DEP_4)
	v_add_f64_e32 v[76:77], v[161:162], v[76:77]
	v_mul_f64_e32 v[74:75], s[20:21], v[209:210]
	v_add_f64_e32 v[60:61], v[62:63], v[60:61]
	v_mul_f64_e32 v[62:63], s[16:17], v[106:107]
	v_add_f64_e32 v[42:43], v[72:73], v[42:43]
	s_delay_alu instid0(VALU_DEP_4) | instskip(NEXT) | instid1(VALU_DEP_3)
	v_add_f64_e64 v[74:75], v[74:75], -v[114:115]
	v_add_f64_e32 v[62:63], v[68:69], v[62:63]
	v_mul_f64_e32 v[68:69], s[10:11], v[209:210]
	s_delay_alu instid0(VALU_DEP_2) | instskip(NEXT) | instid1(VALU_DEP_2)
	v_add_f64_e32 v[40:41], v[62:63], v[40:41]
	v_add_f64_e64 v[68:69], v[68:69], -v[122:123]
	v_mul_f64_e32 v[62:63], s[6:7], v[239:240]
	s_delay_alu instid0(VALU_DEP_3) | instskip(SKIP_1) | instid1(VALU_DEP_3)
	v_add_f64_e32 v[40:41], v[60:61], v[40:41]
	v_mul_f64_e32 v[60:61], s[22:23], v[130:131]
	v_add_f64_e64 v[62:63], v[62:63], -v[159:160]
	s_delay_alu instid0(VALU_DEP_3)
	v_add_f64_e32 v[38:39], v[38:39], v[40:41]
	v_add_f64_e32 v[40:41], v[70:71], v[42:43]
	v_mul_f64_e32 v[42:43], s[22:23], v[126:127]
	v_add_f64_e32 v[60:61], v[195:196], v[60:61]
	s_clause 0x1
	scratch_load_b64 v[70:71], off, off offset:328 th:TH_LOAD_LU
	scratch_load_b64 v[72:73], off, off offset:216 th:TH_LOAD_LU
	v_add_f64_e32 v[36:37], v[36:37], v[38:39]
	v_add_f64_e32 v[38:39], v[68:69], v[40:41]
	v_add_f64_e64 v[42:43], v[42:43], -v[191:192]
	v_mul_f64_e32 v[40:41], s[8:9], v[165:166]
	scratch_load_b64 v[68:69], off, off offset:440 th:TH_LOAD_LU ; 8-byte Folded Reload
	v_add_f64_e32 v[36:37], v[76:77], v[36:37]
	v_add_f64_e32 v[38:39], v[62:63], v[38:39]
	v_mul_f64_e32 v[62:63], s[8:9], v[163:164]
	v_add_f64_e32 v[40:41], v[225:226], v[40:41]
	v_mul_f64_e32 v[76:77], s[16:17], v[241:242]
	v_add_f64_e32 v[36:37], v[60:61], v[36:37]
	v_add_f64_e32 v[42:43], v[42:43], v[38:39]
	v_add_f64_e64 v[62:63], v[62:63], -v[223:224]
	scratch_load_b64 v[60:61], off, off offset:336 th:TH_LOAD_LU ; 8-byte Folded Reload
	v_add_f64_e32 v[76:77], v[153:154], v[76:77]
	v_add_f64_e32 v[38:39], v[40:41], v[36:37]
	v_mul_f64_e32 v[40:41], s[22:23], v[181:182]
	v_add_f64_e32 v[36:37], v[62:63], v[42:43]
	s_clause 0x1
	scratch_load_b64 v[42:43], off, off offset:448 th:TH_LOAD_LU
	scratch_load_b64 v[62:63], off, off offset:224 th:TH_LOAD_LU
	s_wait_loadcnt 0x1
	v_add_f64_e32 v[40:41], v[42:43], v[40:41]
	v_mul_f64_e32 v[42:43], s[18:19], v[149:150]
	s_delay_alu instid0(VALU_DEP_1) | instskip(SKIP_2) | instid1(VALU_DEP_1)
	v_add_f64_e32 v[42:43], v[60:61], v[42:43]
	v_mul_f64_e32 v[60:61], s[10:11], v[106:107]
	s_wait_loadcnt 0x0
	v_add_f64_e32 v[60:61], v[62:63], v[60:61]
	v_mul_f64_e32 v[62:63], s[22:23], v[177:178]
	s_delay_alu instid0(VALU_DEP_2) | instskip(NEXT) | instid1(VALU_DEP_2)
	v_add_f64_e32 v[52:53], v[60:61], v[52:53]
	v_add_f64_e64 v[62:63], v[62:63], -v[68:69]
	v_mul_f64_e32 v[68:69], s[18:19], v[145:146]
	v_mul_f64_e32 v[60:61], s[16:17], v[239:240]
	s_delay_alu instid0(VALU_DEP_4) | instskip(NEXT) | instid1(VALU_DEP_3)
	v_add_f64_e32 v[42:43], v[42:43], v[52:53]
	v_add_f64_e64 v[68:69], v[68:69], -v[70:71]
	v_mul_f64_e32 v[70:71], s[10:11], v[104:105]
	s_delay_alu instid0(VALU_DEP_4) | instskip(NEXT) | instid1(VALU_DEP_4)
	v_add_f64_e64 v[60:61], v[60:61], -v[151:152]
	v_add_f64_e32 v[40:41], v[40:41], v[42:43]
	s_delay_alu instid0(VALU_DEP_3) | instskip(SKIP_1) | instid1(VALU_DEP_2)
	v_add_f64_e64 v[70:71], v[70:71], -v[72:73]
	v_mul_f64_e32 v[72:73], s[20:21], v[211:212]
	v_add_f64_e32 v[54:55], v[70:71], v[54:55]
	s_delay_alu instid0(VALU_DEP_2) | instskip(SKIP_1) | instid1(VALU_DEP_3)
	v_add_f64_e32 v[72:73], v[116:117], v[72:73]
	v_mul_f64_e32 v[70:71], s[16:17], v[177:178]
	v_add_f64_e32 v[52:53], v[68:69], v[54:55]
	v_mul_f64_e32 v[54:55], s[8:9], v[130:131]
	s_delay_alu instid0(VALU_DEP_4)
	v_add_f64_e32 v[40:41], v[72:73], v[40:41]
	s_clause 0x1
	scratch_load_b64 v[68:69], off, off offset:208 th:TH_LOAD_LU
	scratch_load_b64 v[72:73], off, off offset:424 th:TH_LOAD_LU
	v_add_f64_e32 v[42:43], v[62:63], v[52:53]
	v_mul_f64_e32 v[52:53], s[8:9], v[126:127]
	v_add_f64_e32 v[54:55], v[189:190], v[54:55]
	v_mul_f64_e32 v[62:63], s[0:1], v[165:166]
	v_add_f64_e32 v[40:41], v[76:77], v[40:41]
	v_add_f64_e32 v[42:43], v[74:75], v[42:43]
	scratch_load_b64 v[74:75], off, off offset:312 th:TH_LOAD_LU ; 8-byte Folded Reload
	v_add_f64_e64 v[52:53], v[52:53], -v[187:188]
	v_add_f64_e32 v[62:63], v[205:206], v[62:63]
	v_add_f64_e32 v[40:41], v[54:55], v[40:41]
	scratch_load_b64 v[76:77], off, off offset:200 th:TH_LOAD_LU ; 8-byte Folded Reload
	v_mul_f64_e32 v[54:55], s[16:17], v[181:182]
	v_add_f64_e32 v[42:43], v[60:61], v[42:43]
	v_mul_f64_e32 v[60:61], s[0:1], v[163:164]
	s_delay_alu instid0(VALU_DEP_2) | instskip(NEXT) | instid1(VALU_DEP_2)
	v_add_f64_e32 v[52:53], v[52:53], v[42:43]
	v_add_f64_e64 v[60:61], v[60:61], -v[203:204]
	v_add_f64_e32 v[42:43], v[62:63], v[40:41]
	scratch_load_b64 v[62:63], off, off offset:320 th:TH_LOAD_LU ; 8-byte Folded Reload
	v_add_f64_e32 v[40:41], v[60:61], v[52:53]
	scratch_load_b64 v[60:61], off, off offset:432 th:TH_LOAD_LU ; 8-byte Folded Reload
	v_mul_f64_e32 v[52:53], s[6:7], v[211:212]
	s_delay_alu instid0(VALU_DEP_1) | instskip(SKIP_4) | instid1(VALU_DEP_1)
	v_add_f64_e32 v[52:53], v[112:113], v[52:53]
	s_wait_loadcnt 0x4
	v_add_f64_e64 v[70:71], v[70:71], -v[72:73]
	v_mul_f64_e32 v[72:73], s[22:23], v[145:146]
	s_wait_loadcnt 0x3
	v_add_f64_e64 v[72:73], v[72:73], -v[74:75]
	v_mul_f64_e32 v[74:75], s[18:19], v[104:105]
	s_wait_loadcnt 0x2
	s_delay_alu instid0(VALU_DEP_1) | instskip(SKIP_1) | instid1(VALU_DEP_2)
	v_add_f64_e64 v[74:75], v[74:75], -v[76:77]
	v_mul_f64_e32 v[76:77], s[0:1], v[241:242]
	v_add_f64_e32 v[46:47], v[74:75], v[46:47]
	s_delay_alu instid0(VALU_DEP_2)
	v_add_f64_e32 v[76:77], v[147:148], v[76:77]
	scratch_load_b64 v[74:75], off, off offset:296 th:TH_LOAD_LU ; 8-byte Folded Reload
	s_wait_loadcnt 0x1
	v_add_f64_e32 v[54:55], v[60:61], v[54:55]
	v_mul_f64_e32 v[60:61], s[22:23], v[149:150]
	v_add_f64_e32 v[46:47], v[72:73], v[46:47]
	scratch_load_b64 v[72:73], off, off offset:408 th:TH_LOAD_LU ; 8-byte Folded Reload
	v_add_f64_e32 v[60:61], v[62:63], v[60:61]
	v_mul_f64_e32 v[62:63], s[18:19], v[106:107]
	v_add_f64_e32 v[46:47], v[70:71], v[46:47]
	v_mul_f64_e32 v[70:71], s[0:1], v[177:178]
	s_delay_alu instid0(VALU_DEP_3) | instskip(SKIP_1) | instid1(VALU_DEP_2)
	v_add_f64_e32 v[62:63], v[68:69], v[62:63]
	v_mul_f64_e32 v[68:69], s[6:7], v[209:210]
	v_add_f64_e32 v[44:45], v[62:63], v[44:45]
	s_delay_alu instid0(VALU_DEP_2) | instskip(SKIP_1) | instid1(VALU_DEP_3)
	v_add_f64_e64 v[68:69], v[68:69], -v[243:244]
	v_mul_f64_e32 v[62:63], s[0:1], v[239:240]
	v_add_f64_e32 v[44:45], v[60:61], v[44:45]
	v_mul_f64_e32 v[60:61], s[10:11], v[130:131]
	s_delay_alu instid0(VALU_DEP_3)
	v_add_f64_e64 v[62:63], v[62:63], -v[143:144]
	v_add_f64_e32 v[46:47], v[68:69], v[46:47]
	scratch_load_b64 v[68:69], off, off offset:192 th:TH_LOAD_LU ; 8-byte Folded Reload
	v_add_f64_e32 v[44:45], v[54:55], v[44:45]
	v_mul_f64_e32 v[54:55], s[10:11], v[126:127]
	v_add_f64_e32 v[60:61], v[185:186], v[60:61]
	v_add_f64_e32 v[46:47], v[62:63], v[46:47]
	v_mul_f64_e32 v[62:63], s[20:21], v[163:164]
	v_add_f64_e32 v[44:45], v[52:53], v[44:45]
	v_add_f64_e64 v[54:55], v[54:55], -v[183:184]
	v_mul_f64_e32 v[52:53], s[20:21], v[165:166]
	s_delay_alu instid0(VALU_DEP_4) | instskip(NEXT) | instid1(VALU_DEP_4)
	v_add_f64_e64 v[62:63], v[62:63], -v[207:208]
	v_add_f64_e32 v[44:45], v[76:77], v[44:45]
	s_delay_alu instid0(VALU_DEP_4) | instskip(NEXT) | instid1(VALU_DEP_4)
	v_add_f64_e32 v[54:55], v[54:55], v[46:47]
	v_add_f64_e32 v[52:53], v[213:214], v[52:53]
	scratch_load_b64 v[76:77], off, off offset:184 th:TH_LOAD_LU ; 8-byte Folded Reload
	v_add_f64_e32 v[44:45], v[60:61], v[44:45]
	scratch_load_b64 v[60:61], off, off offset:416 th:TH_LOAD_LU ; 8-byte Folded Reload
	s_wait_loadcnt 0x3
	v_add_f64_e64 v[70:71], v[70:71], -v[72:73]
	v_mul_f64_e32 v[72:73], s[16:17], v[145:146]
	v_add_f64_e32 v[46:47], v[52:53], v[44:45]
	v_add_f64_e32 v[44:45], v[62:63], v[54:55]
	scratch_load_b64 v[62:63], off, off offset:304 th:TH_LOAD_LU ; 8-byte Folded Reload
	v_mul_f64_e32 v[54:55], s[0:1], v[181:182]
	v_mul_f64_e32 v[52:53], s[8:9], v[211:212]
	v_add_f64_e64 v[72:73], v[72:73], -v[74:75]
	v_mul_f64_e32 v[74:75], s[22:23], v[104:105]
	s_delay_alu instid0(VALU_DEP_3) | instskip(SKIP_1) | instid1(VALU_DEP_2)
	v_add_f64_e32 v[52:53], v[251:252], v[52:53]
	s_wait_loadcnt 0x2
	v_add_f64_e64 v[74:75], v[74:75], -v[76:77]
	v_mul_f64_e32 v[76:77], s[20:21], v[241:242]
	s_wait_loadcnt 0x1
	v_add_f64_e32 v[54:55], v[60:61], v[54:55]
	v_mul_f64_e32 v[60:61], s[16:17], v[149:150]
	s_delay_alu instid0(VALU_DEP_4) | instskip(NEXT) | instid1(VALU_DEP_4)
	v_add_f64_e32 v[50:51], v[74:75], v[50:51]
	v_add_f64_e32 v[76:77], v[141:142], v[76:77]
	scratch_load_b64 v[74:75], off, off offset:280 th:TH_LOAD_LU ; 8-byte Folded Reload
	s_wait_loadcnt 0x1
	v_add_f64_e32 v[60:61], v[62:63], v[60:61]
	v_mul_f64_e32 v[62:63], s[22:23], v[106:107]
	v_add_f64_e32 v[50:51], v[72:73], v[50:51]
	scratch_load_b64 v[72:73], off, off offset:392 th:TH_LOAD_LU ; 8-byte Folded Reload
	v_add_f64_e32 v[62:63], v[68:69], v[62:63]
	v_mul_f64_e32 v[68:69], s[8:9], v[209:210]
	v_add_f64_e32 v[50:51], v[70:71], v[50:51]
	v_mul_f64_e32 v[70:71], s[8:9], v[177:178]
	s_delay_alu instid0(VALU_DEP_4) | instskip(NEXT) | instid1(VALU_DEP_4)
	v_add_f64_e32 v[48:49], v[62:63], v[48:49]
	v_add_f64_e64 v[68:69], v[68:69], -v[249:250]
	v_mul_f64_e32 v[62:63], s[20:21], v[239:240]
	s_delay_alu instid0(VALU_DEP_3) | instskip(SKIP_1) | instid1(VALU_DEP_3)
	v_add_f64_e32 v[48:49], v[60:61], v[48:49]
	v_mul_f64_e32 v[60:61], s[18:19], v[130:131]
	v_add_f64_e64 v[62:63], v[62:63], -v[139:140]
	v_add_f64_e32 v[50:51], v[68:69], v[50:51]
	scratch_load_b64 v[68:69], off, off offset:176 th:TH_LOAD_LU ; 8-byte Folded Reload
	v_add_f64_e32 v[48:49], v[54:55], v[48:49]
	v_mul_f64_e32 v[54:55], s[18:19], v[126:127]
	v_add_f64_e32 v[60:61], v[179:180], v[60:61]
	v_add_f64_e32 v[50:51], v[62:63], v[50:51]
	v_mul_f64_e32 v[62:63], s[6:7], v[163:164]
	v_add_f64_e32 v[48:49], v[52:53], v[48:49]
	v_add_f64_e64 v[54:55], v[54:55], -v[175:176]
	v_mul_f64_e32 v[52:53], s[6:7], v[165:166]
	s_delay_alu instid0(VALU_DEP_4) | instskip(NEXT) | instid1(VALU_DEP_4)
	v_add_f64_e64 v[62:63], v[62:63], -v[215:216]
	v_add_f64_e32 v[48:49], v[76:77], v[48:49]
	s_delay_alu instid0(VALU_DEP_4) | instskip(NEXT) | instid1(VALU_DEP_4)
	v_add_f64_e32 v[54:55], v[54:55], v[50:51]
	v_add_f64_e32 v[52:53], v[217:218], v[52:53]
	scratch_load_b64 v[76:77], off, off offset:168 th:TH_LOAD_LU ; 8-byte Folded Reload
	v_add_f64_e32 v[48:49], v[60:61], v[48:49]
	scratch_load_b64 v[60:61], off, off offset:400 th:TH_LOAD_LU ; 8-byte Folded Reload
	v_add_f64_e32 v[50:51], v[52:53], v[48:49]
	v_add_f64_e32 v[48:49], v[62:63], v[54:55]
	scratch_load_b64 v[62:63], off, off offset:288 th:TH_LOAD_LU ; 8-byte Folded Reload
	v_mul_f64_e32 v[54:55], s[8:9], v[181:182]
	v_mul_f64_e32 v[52:53], s[22:23], v[211:212]
	s_wait_loadcnt 0x4
	v_add_f64_e64 v[70:71], v[70:71], -v[72:73]
	v_mul_f64_e32 v[72:73], s[6:7], v[145:146]
	s_delay_alu instid0(VALU_DEP_3) | instskip(NEXT) | instid1(VALU_DEP_2)
	v_add_f64_e32 v[52:53], v[247:248], v[52:53]
	v_add_f64_e64 v[72:73], v[72:73], -v[74:75]
	v_mul_f64_e32 v[74:75], s[20:21], v[104:105]
	s_wait_loadcnt 0x2
	s_delay_alu instid0(VALU_DEP_1) | instskip(SKIP_4) | instid1(VALU_DEP_3)
	v_add_f64_e64 v[74:75], v[74:75], -v[76:77]
	v_mul_f64_e32 v[76:77], s[10:11], v[241:242]
	s_wait_loadcnt 0x1
	v_add_f64_e32 v[54:55], v[60:61], v[54:55]
	v_mul_f64_e32 v[60:61], s[6:7], v[149:150]
	v_add_f64_e32 v[76:77], v[137:138], v[76:77]
	s_wait_loadcnt 0x0
	s_delay_alu instid0(VALU_DEP_2) | instskip(SKIP_1) | instid1(VALU_DEP_1)
	v_add_f64_e32 v[60:61], v[62:63], v[60:61]
	v_mul_f64_e32 v[62:63], s[20:21], v[106:107]
	v_add_f64_e32 v[62:63], v[68:69], v[62:63]
	v_mul_f64_e32 v[68:69], s[22:23], v[209:210]
	s_delay_alu instid0(VALU_DEP_2) | instskip(SKIP_1) | instid1(VALU_DEP_3)
	v_add_f64_e32 v[62:63], v[62:63], v[64:65]
	v_add_f64_e32 v[64:65], v[74:75], v[66:67]
	v_add_f64_e64 v[68:69], v[68:69], -v[245:246]
	v_mul_f64_e32 v[66:67], s[10:11], v[239:240]
	scratch_load_b64 v[74:75], off, off offset:464 th:TH_LOAD_LU ; 8-byte Folded Reload
	v_add_f64_e32 v[60:61], v[60:61], v[62:63]
	v_add_f64_e32 v[62:63], v[72:73], v[64:65]
	v_mul_f64_e32 v[64:65], s[0:1], v[130:131]
	v_add_f64_e64 v[66:67], v[66:67], -v[135:136]
	s_delay_alu instid0(VALU_DEP_4) | instskip(NEXT) | instid1(VALU_DEP_4)
	v_add_f64_e32 v[54:55], v[54:55], v[60:61]
	v_add_f64_e32 v[60:61], v[70:71], v[62:63]
	v_mul_f64_e32 v[62:63], s[0:1], v[126:127]
	v_add_f64_e32 v[64:65], v[171:172], v[64:65]
	scratch_load_b64 v[70:71], off, off offset:248 th:TH_LOAD_LU ; 8-byte Folded Reload
	v_add_f64_e32 v[52:53], v[52:53], v[54:55]
	v_add_f64_e32 v[54:55], v[68:69], v[60:61]
	v_add_f64_e64 v[62:63], v[62:63], -v[169:170]
	v_mul_f64_e32 v[60:61], s[18:19], v[165:166]
	scratch_load_b64 v[68:69], off, off offset:136 th:TH_LOAD_LU ; 8-byte Folded Reload
	v_add_f64_e32 v[52:53], v[76:77], v[52:53]
	scratch_load_b64 v[76:77], off, off offset:456 th:TH_LOAD_LU ; 8-byte Folded Reload
	v_add_f64_e32 v[54:55], v[66:67], v[54:55]
	v_mul_f64_e32 v[66:67], s[18:19], v[163:164]
	v_add_f64_e32 v[60:61], v[221:222], v[60:61]
	scratch_load_b64 v[72:73], off, off offset:352 th:TH_LOAD_LU ; 8-byte Folded Reload
	v_add_f64_e32 v[52:53], v[64:65], v[52:53]
	scratch_load_b64 v[64:65], off, off offset:256 th:TH_LOAD_LU ; 8-byte Folded Reload
	v_add_f64_e32 v[62:63], v[62:63], v[54:55]
	v_add_f64_e64 v[66:67], v[66:67], -v[219:220]
	v_add_f64_e32 v[54:55], v[60:61], v[52:53]
	v_mul_f64_e32 v[60:61], s[10:11], v[181:182]
	s_delay_alu instid0(VALU_DEP_3)
	v_add_f64_e32 v[52:53], v[66:67], v[62:63]
	s_clause 0x1
	scratch_load_b64 v[62:63], off, off offset:368 th:TH_LOAD_LU
	scratch_load_b64 v[66:67], off, off offset:144 th:TH_LOAD_LU
	s_wait_loadcnt 0x1
	v_add_f64_e32 v[60:61], v[62:63], v[60:61]
	v_mul_f64_e32 v[62:63], s[8:9], v[149:150]
	s_delay_alu instid0(VALU_DEP_1) | instskip(SKIP_2) | instid1(VALU_DEP_1)
	v_add_f64_e32 v[62:63], v[64:65], v[62:63]
	v_mul_f64_e32 v[64:65], s[6:7], v[106:107]
	s_wait_loadcnt 0x0
	v_add_f64_e32 v[64:65], v[66:67], v[64:65]
	v_mul_f64_e32 v[66:67], s[6:7], v[104:105]
	s_delay_alu instid0(VALU_DEP_2) | instskip(NEXT) | instid1(VALU_DEP_2)
	v_add_f64_e32 v[56:57], v[64:65], v[56:57]
	v_add_f64_e64 v[66:67], v[66:67], -v[68:69]
	v_mul_f64_e32 v[68:69], s[8:9], v[145:146]
	v_mul_f64_e32 v[64:65], s[18:19], v[239:240]
	s_delay_alu instid0(VALU_DEP_4) | instskip(NEXT) | instid1(VALU_DEP_4)
	v_add_f64_e32 v[56:57], v[62:63], v[56:57]
	v_add_f64_e32 v[58:59], v[66:67], v[58:59]
	s_delay_alu instid0(VALU_DEP_4)
	v_add_f64_e64 v[68:69], v[68:69], -v[70:71]
	v_mul_f64_e32 v[70:71], s[10:11], v[177:178]
	v_add_f64_e64 v[64:65], v[64:65], -v[118:119]
	v_mul_f64_e32 v[62:63], s[20:21], v[130:131]
	v_mul_f64_e32 v[66:67], s[22:23], v[165:166]
	v_add_f64_e32 v[56:57], v[60:61], v[56:57]
	v_mul_f64_e32 v[60:61], s[20:21], v[126:127]
	v_add_f64_e32 v[58:59], v[68:69], v[58:59]
	v_add_f64_e64 v[70:71], v[70:71], -v[72:73]
	v_mul_f64_e32 v[72:73], s[16:17], v[211:212]
	v_add_f64_e32 v[62:63], v[157:158], v[62:63]
	v_add_f64_e32 v[66:67], v[197:198], v[66:67]
	v_add_f64_e64 v[60:61], v[60:61], -v[155:156]
	v_add_f64_e32 v[58:59], v[70:71], v[58:59]
	v_add_f64_e32 v[72:73], v[74:75], v[72:73]
	v_mul_f64_e32 v[74:75], s[16:17], v[209:210]
	s_delay_alu instid0(VALU_DEP_2) | instskip(NEXT) | instid1(VALU_DEP_2)
	v_add_f64_e32 v[56:57], v[72:73], v[56:57]
	v_add_f64_e64 v[74:75], v[74:75], -v[76:77]
	v_mul_f64_e32 v[76:77], s[18:19], v[241:242]
	s_delay_alu instid0(VALU_DEP_2) | instskip(NEXT) | instid1(VALU_DEP_2)
	v_add_f64_e32 v[58:59], v[74:75], v[58:59]
	v_add_f64_e32 v[76:77], v[120:121], v[76:77]
	s_delay_alu instid0(VALU_DEP_2) | instskip(NEXT) | instid1(VALU_DEP_2)
	v_add_f64_e32 v[58:59], v[64:65], v[58:59]
	v_add_f64_e32 v[56:57], v[76:77], v[56:57]
	v_mul_f64_e32 v[64:65], s[22:23], v[163:164]
	s_delay_alu instid0(VALU_DEP_3) | instskip(NEXT) | instid1(VALU_DEP_3)
	v_add_f64_e32 v[60:61], v[60:61], v[58:59]
	v_add_f64_e32 v[56:57], v[62:63], v[56:57]
	s_delay_alu instid0(VALU_DEP_3) | instskip(NEXT) | instid1(VALU_DEP_2)
	v_add_f64_e64 v[64:65], v[64:65], -v[193:194]
	v_add_f64_e32 v[58:59], v[66:67], v[56:57]
	s_delay_alu instid0(VALU_DEP_2) | instskip(SKIP_1) | instid1(VALU_DEP_1)
	v_add_f64_e32 v[56:57], v[64:65], v[60:61]
	v_and_b32_e32 v60, 0xffff, v227
	v_add_lshl_u32 v60, v236, v60, 4
	ds_store_b128 v60, v[40:43] offset:32
	ds_store_b128 v60, v[44:47] offset:48
	;; [unrolled: 1-line block ×15, first 2 shown]
	ds_store_b128 v60, v[32:35]
	ds_store_b128 v60, v[0:3] offset:256
.LBB0_7:
	s_wait_alu 0xfffe
	s_or_b32 exec_lo, exec_lo, s24
	v_add_lshl_u32 v193, v236, v132, 4
	global_wb scope:SCOPE_SE
	s_wait_dscnt 0x0
	s_barrier_signal -1
	s_barrier_wait -1
	global_inv scope:SCOPE_SE
	ds_load_b128 v[52:55], v193
	ds_load_b128 v[56:59], v193 offset:544
	ds_load_b128 v[68:71], v193 offset:2448
	;; [unrolled: 1-line block ×7, first 2 shown]
	v_cmp_gt_u16_e64 s0, 17, v132
	s_delay_alu instid0(VALU_DEP_1)
	s_and_saveexec_b32 s1, s0
	s_cbranch_execz .LBB0_9
; %bb.8:
	ds_load_b128 v[96:99], v193 offset:2176
	ds_load_b128 v[100:103], v193 offset:4624
.LBB0_9:
	s_wait_alu 0xfffe
	s_or_b32 exec_lo, exec_lo, s1
	v_add_nc_u16 v28, v132, 34
	v_add_nc_u16 v29, v132, 0x44
	;; [unrolled: 1-line block ×3, first 2 shown]
	v_add_co_u32 v34, s1, 0xffffffef, v132
	s_delay_alu instid0(VALU_DEP_4) | instskip(NEXT) | instid1(VALU_DEP_4)
	v_and_b32_e32 v31, 0xff, v28
	v_and_b32_e32 v32, 0xff, v29
	s_delay_alu instid0(VALU_DEP_4)
	v_and_b32_e32 v33, 0xff, v30
	s_wait_alu 0xf1ff
	v_add_co_ci_u32_e64 v35, null, 0, -1, s1
	v_mul_lo_u16 v31, 0xf1, v31
	v_mul_lo_u16 v32, 0xf1, v32
	;; [unrolled: 1-line block ×3, first 2 shown]
	s_delay_alu instid0(VALU_DEP_4) | instskip(SKIP_4) | instid1(VALU_DEP_3)
	v_cndmask_b32_e64 v85, v35, 0, s0
	v_cndmask_b32_e64 v84, v34, v132, s0
	v_lshrrev_b16 v95, 12, v31
	v_lshrrev_b16 v106, 12, v32
	v_lshrrev_b16 v107, 12, v33
	v_mul_lo_u16 v31, v95, 17
	s_delay_alu instid0(VALU_DEP_3) | instskip(NEXT) | instid1(VALU_DEP_3)
	v_mul_lo_u16 v32, v106, 17
	v_mul_lo_u16 v33, v107, 17
	s_delay_alu instid0(VALU_DEP_3) | instskip(NEXT) | instid1(VALU_DEP_3)
	v_sub_nc_u16 v108, v28, v31
	v_sub_nc_u16 v31, v29, v32
	v_lshlrev_b64_e32 v[28:29], 4, v[84:85]
	s_delay_alu instid0(VALU_DEP_4) | instskip(NEXT) | instid1(VALU_DEP_4)
	v_sub_nc_u16 v30, v30, v33
	v_and_b32_e32 v32, 0xff, v108
	s_delay_alu instid0(VALU_DEP_4) | instskip(NEXT) | instid1(VALU_DEP_4)
	v_and_b32_e32 v109, 0xff, v31
	v_add_co_u32 v28, s1, s2, v28
	s_wait_alu 0xf1ff
	v_add_co_ci_u32_e64 v29, s1, s3, v29, s1
	v_and_b32_e32 v110, 0xff, v30
	v_lshlrev_b32_e32 v30, 4, v32
	v_lshlrev_b32_e32 v31, 4, v109
	global_load_b128 v[36:39], v[28:29], off
	v_add_nc_u16 v29, v132, 0x88
	v_lshlrev_b32_e32 v28, 4, v110
	s_clause 0x1
	global_load_b128 v[40:43], v30, s[2:3]
	global_load_b128 v[32:35], v31, s[2:3]
	v_cmp_lt_u16_e64 s1, 16, v132
	s_load_b128 s[4:7], s[4:5], 0x0
	global_load_b128 v[44:47], v28, s[2:3]
	v_and_b32_e32 v28, 0xff, v29
	s_delay_alu instid0(VALU_DEP_1) | instskip(NEXT) | instid1(VALU_DEP_1)
	v_mul_lo_u16 v28, 0xf1, v28
	v_lshrrev_b16 v28, 12, v28
	s_delay_alu instid0(VALU_DEP_1) | instskip(NEXT) | instid1(VALU_DEP_1)
	v_mul_lo_u16 v28, v28, 17
	v_sub_nc_u16 v28, v29, v28
	s_delay_alu instid0(VALU_DEP_1) | instskip(NEXT) | instid1(VALU_DEP_1)
	v_and_b32_e32 v195, 0xff, v28
	v_lshlrev_b32_e32 v28, 4, v195
	global_load_b128 v[28:31], v28, s[2:3]
	global_wb scope:SCOPE_SE
	s_wait_loadcnt_dscnt 0x0
	s_wait_kmcnt 0x0
	s_barrier_signal -1
	s_barrier_wait -1
	global_inv scope:SCOPE_SE
	v_mul_f64_e32 v[80:81], v[70:71], v[38:39]
	v_mul_f64_e32 v[82:83], v[68:69], v[38:39]
	;; [unrolled: 1-line block ×8, first 2 shown]
	v_fma_f64 v[68:69], v[68:69], v[36:37], -v[80:81]
	v_fma_f64 v[70:71], v[70:71], v[36:37], v[82:83]
	v_fma_f64 v[80:81], v[64:65], v[40:41], -v[85:86]
	v_fma_f64 v[82:83], v[66:67], v[40:41], v[87:88]
	;; [unrolled: 2-line block ×3, first 2 shown]
	v_mul_f64_e32 v[89:90], v[102:103], v[30:31]
	v_mul_f64_e32 v[91:92], v[100:101], v[30:31]
	v_fma_f64 v[85:86], v[72:73], v[44:45], -v[93:94]
	v_fma_f64 v[87:88], v[74:75], v[44:45], v[104:105]
	v_add_f64_e64 v[64:65], v[52:53], -v[68:69]
	v_add_f64_e64 v[66:67], v[54:55], -v[70:71]
	;; [unrolled: 1-line block ×6, first 2 shown]
	v_fma_f64 v[80:81], v[100:101], v[28:29], -v[89:90]
	v_fma_f64 v[82:83], v[102:103], v[28:29], v[91:92]
	v_add_f64_e64 v[76:77], v[48:49], -v[85:86]
	v_add_f64_e64 v[78:79], v[50:51], -v[87:88]
	v_cndmask_b32_e64 v85, 0, 34, s1
	v_and_b32_e32 v86, 0xffff, v106
	v_and_b32_e32 v87, 0xffff, v107
	s_delay_alu instid0(VALU_DEP_3) | instskip(SKIP_1) | instid1(VALU_DEP_4)
	v_add_nc_u32_e32 v84, v84, v85
	v_mad_u16 v85, v95, 34, v108
	v_mul_u32_u24_e32 v86, 34, v86
	s_delay_alu instid0(VALU_DEP_4) | instskip(NEXT) | instid1(VALU_DEP_4)
	v_mul_u32_u24_e32 v87, 34, v87
	v_add_lshl_u32 v220, v236, v84, 4
	s_delay_alu instid0(VALU_DEP_4) | instskip(NEXT) | instid1(VALU_DEP_4)
	v_and_b32_e32 v84, 0xff, v85
	v_add_nc_u32_e32 v85, v86, v109
	s_delay_alu instid0(VALU_DEP_4) | instskip(NEXT) | instid1(VALU_DEP_3)
	v_add_nc_u32_e32 v86, v87, v110
	v_add_lshl_u32 v198, v236, v84, 4
	s_delay_alu instid0(VALU_DEP_3) | instskip(NEXT) | instid1(VALU_DEP_3)
	v_add_lshl_u32 v197, v236, v85, 4
	v_add_lshl_u32 v196, v236, v86, 4
	v_fma_f64 v[52:53], v[52:53], 2.0, -v[64:65]
	v_fma_f64 v[54:55], v[54:55], 2.0, -v[66:67]
	;; [unrolled: 1-line block ×6, first 2 shown]
	v_add_f64_e64 v[80:81], v[96:97], -v[80:81]
	v_add_f64_e64 v[82:83], v[98:99], -v[82:83]
	v_fma_f64 v[48:49], v[48:49], 2.0, -v[76:77]
	v_fma_f64 v[50:51], v[50:51], 2.0, -v[78:79]
	ds_store_b128 v220, v[52:55]
	ds_store_b128 v220, v[64:67] offset:272
	ds_store_b128 v198, v[56:59]
	ds_store_b128 v198, v[68:71] offset:272
	ds_store_b128 v197, v[60:63]
	ds_store_b128 v197, v[72:75] offset:272
	ds_store_b128 v196, v[48:51]
	ds_store_b128 v196, v[76:79] offset:272
	s_and_saveexec_b32 s1, s0
	s_cbranch_execz .LBB0_11
; %bb.10:
	v_fma_f64 v[50:51], v[98:99], 2.0, -v[82:83]
	v_fma_f64 v[48:49], v[96:97], 2.0, -v[80:81]
	v_add_lshl_u32 v52, v236, v195, 4
	ds_store_b128 v52, v[48:51] offset:4352
	ds_store_b128 v52, v[80:83] offset:4624
.LBB0_11:
	s_wait_alu 0xfffe
	s_or_b32 exec_lo, exec_lo, s1
	v_lshlrev_b32_e32 v48, 7, v132
	global_wb scope:SCOPE_SE
	s_wait_dscnt 0x0
	s_barrier_signal -1
	s_barrier_wait -1
	global_inv scope:SCOPE_SE
	s_clause 0x7
	global_load_b128 v[56:59], v48, s[2:3] offset:272
	global_load_b128 v[68:71], v48, s[2:3] offset:384
	global_load_b128 v[64:67], v48, s[2:3] offset:288
	global_load_b128 v[60:63], v48, s[2:3] offset:320
	global_load_b128 v[76:79], v48, s[2:3] offset:336
	global_load_b128 v[72:75], v48, s[2:3] offset:368
	global_load_b128 v[52:55], v48, s[2:3] offset:304
	global_load_b128 v[48:51], v48, s[2:3] offset:352
	ds_load_b128 v[84:87], v193 offset:544
	ds_load_b128 v[88:91], v193 offset:4352
	;; [unrolled: 1-line block ×7, first 2 shown]
	s_mov_b32 s9, 0x3fe491b7
	s_mov_b32 s8, 0x523c161c
	;; [unrolled: 1-line block ×8, first 2 shown]
	v_lshl_add_u32 v194, v132, 4, v255
	s_wait_loadcnt_dscnt 0x706
	v_mul_f64_e32 v[112:113], v[86:87], v[58:59]
	v_mul_f64_e32 v[114:115], v[84:85], v[58:59]
	s_wait_loadcnt_dscnt 0x605
	v_mul_f64_e32 v[116:117], v[90:91], v[70:71]
	v_mul_f64_e32 v[118:119], v[88:89], v[70:71]
	;; [unrolled: 3-line block ×3, first 2 shown]
	s_wait_loadcnt_dscnt 0x403
	v_mul_f64_e32 v[124:125], v[98:99], v[62:63]
	s_wait_loadcnt_dscnt 0x302
	v_mul_f64_e32 v[126:127], v[102:103], v[78:79]
	v_mul_f64_e32 v[128:129], v[96:97], v[62:63]
	;; [unrolled: 1-line block ×3, first 2 shown]
	s_wait_loadcnt_dscnt 0x201
	v_mul_f64_e32 v[133:134], v[106:107], v[74:75]
	v_mul_f64_e32 v[135:136], v[104:105], v[74:75]
	v_fma_f64 v[112:113], v[84:85], v[56:57], -v[112:113]
	v_fma_f64 v[114:115], v[86:87], v[56:57], v[114:115]
	v_fma_f64 v[88:89], v[88:89], v[68:69], -v[116:117]
	v_fma_f64 v[90:91], v[90:91], v[68:69], v[118:119]
	;; [unrolled: 2-line block ×3, first 2 shown]
	v_fma_f64 v[96:97], v[96:97], v[60:61], -v[124:125]
	v_fma_f64 v[100:101], v[100:101], v[76:77], -v[126:127]
	v_fma_f64 v[98:99], v[98:99], v[60:61], v[128:129]
	v_fma_f64 v[102:103], v[102:103], v[76:77], v[130:131]
	v_fma_f64 v[104:105], v[104:105], v[72:73], -v[133:134]
	v_fma_f64 v[106:107], v[106:107], v[72:73], v[135:136]
	ds_load_b128 v[84:87], v193 offset:3264
	s_wait_loadcnt_dscnt 0x101
	v_mul_f64_e32 v[116:117], v[110:111], v[54:55]
	v_mul_f64_e32 v[118:119], v[108:109], v[54:55]
	v_add_f64_e64 v[124:125], v[112:113], -v[88:89]
	v_add_f64_e64 v[126:127], v[114:115], -v[90:91]
	v_add_f64_e32 v[112:113], v[112:113], v[88:89]
	v_add_f64_e32 v[114:115], v[114:115], v[90:91]
	ds_load_b128 v[88:91], v193
	s_wait_loadcnt_dscnt 0x1
	v_mul_f64_e32 v[120:121], v[86:87], v[50:51]
	v_mul_f64_e32 v[122:123], v[84:85], v[50:51]
	v_add_f64_e32 v[128:129], v[96:97], v[100:101]
	v_add_f64_e64 v[130:131], v[96:97], -v[100:101]
	v_add_f64_e64 v[133:134], v[98:99], -v[102:103]
	v_add_f64_e32 v[135:136], v[92:93], v[104:105]
	v_add_f64_e32 v[137:138], v[94:95], v[106:107]
	;; [unrolled: 1-line block ×3, first 2 shown]
	v_add_f64_e64 v[92:93], v[92:93], -v[104:105]
	v_add_f64_e64 v[94:95], v[94:95], -v[106:107]
	v_fma_f64 v[108:109], v[108:109], v[52:53], -v[116:117]
	v_fma_f64 v[110:111], v[110:111], v[52:53], v[118:119]
	s_wait_alu 0xfffe
	v_mul_f64_e32 v[104:105], s[8:9], v[124:125]
	v_mul_f64_e32 v[106:107], s[8:9], v[126:127]
	s_mov_b32 s9, 0xbfe491b7
	s_wait_dscnt 0x0
	v_fma_f64 v[116:117], v[112:113], s[10:11], v[88:89]
	v_fma_f64 v[118:119], v[114:115], s[10:11], v[90:91]
	v_fma_f64 v[84:85], v[84:85], v[48:49], -v[120:121]
	v_fma_f64 v[86:87], v[86:87], v[48:49], v[122:123]
	v_fma_f64 v[120:121], v[128:129], s[10:11], v[88:89]
	v_mul_f64_e32 v[122:123], s[2:3], v[130:131]
	v_mul_f64_e32 v[141:142], s[2:3], v[133:134]
	v_fma_f64 v[143:144], v[135:136], s[10:11], v[88:89]
	v_fma_f64 v[145:146], v[137:138], s[10:11], v[90:91]
	;; [unrolled: 1-line block ×3, first 2 shown]
	s_wait_alu 0xfffe
	v_mul_f64_e32 v[149:150], s[8:9], v[133:134]
	v_mul_f64_e32 v[151:152], s[8:9], v[130:131]
	s_mov_b32 s10, 0x7e0b738b
	s_mov_b32 s11, 0x3fc63a1a
	v_add_f64_e32 v[157:158], v[135:136], v[112:113]
	v_add_f64_e32 v[159:160], v[137:138], v[114:115]
	v_fma_f64 v[104:105], v[92:93], s[2:3], v[104:105]
	v_fma_f64 v[106:107], v[94:95], s[2:3], v[106:107]
	v_add_f64_e32 v[153:154], v[108:109], v[84:85]
	v_add_f64_e32 v[155:156], v[110:111], v[86:87]
	v_add_f64_e64 v[84:85], v[108:109], -v[84:85]
	v_add_f64_e64 v[86:87], v[110:111], -v[86:87]
	s_wait_alu 0xfffe
	v_fma_f64 v[108:109], v[135:136], s[10:11], v[116:117]
	v_fma_f64 v[110:111], v[137:138], s[10:11], v[118:119]
	;; [unrolled: 1-line block ×3, first 2 shown]
	v_fma_f64 v[118:119], v[92:93], s[8:9], -v[122:123]
	v_fma_f64 v[120:121], v[94:95], s[8:9], -v[141:142]
	v_fma_f64 v[122:123], v[128:129], s[10:11], v[143:144]
	v_fma_f64 v[141:142], v[139:140], s[10:11], v[145:146]
	;; [unrolled: 1-line block ×5, first 2 shown]
	s_mov_b32 s2, 0xe8584cab
	s_mov_b32 s3, 0x3febb67a
	;; [unrolled: 1-line block ×3, first 2 shown]
	s_wait_alu 0xfffe
	s_mov_b32 s8, s2
	v_add_f64_e32 v[149:150], v[130:131], v[124:125]
	v_add_f64_e32 v[151:152], v[133:134], v[126:127]
	;; [unrolled: 1-line block ×4, first 2 shown]
	s_mov_b32 s10, 0x748a0bf8
	s_mov_b32 s11, 0x3fd5e3a8
	v_add_f64_e32 v[161:162], v[88:89], v[153:154]
	v_add_f64_e32 v[163:164], v[90:91], v[155:156]
	;; [unrolled: 1-line block ×4, first 2 shown]
	v_fma_f64 v[104:105], v[84:85], s[2:3], v[104:105]
	v_fma_f64 v[106:107], v[86:87], s[2:3], v[106:107]
	v_fma_f64 v[108:109], v[153:154], -0.5, v[108:109]
	v_fma_f64 v[110:111], v[155:156], -0.5, v[110:111]
	;; [unrolled: 1-line block ×3, first 2 shown]
	v_fma_f64 v[118:119], v[84:85], s[2:3], v[118:119]
	v_fma_f64 v[120:121], v[86:87], s[2:3], v[120:121]
	v_fma_f64 v[122:123], v[153:154], -0.5, v[122:123]
	v_fma_f64 v[141:142], v[155:156], -0.5, v[141:142]
	;; [unrolled: 1-line block ×3, first 2 shown]
	s_wait_alu 0xfffe
	v_fma_f64 v[86:87], v[86:87], s[8:9], v[145:146]
	v_fma_f64 v[84:85], v[84:85], s[8:9], v[147:148]
	v_add_f64_e64 v[145:146], v[149:150], -v[92:93]
	v_add_f64_e64 v[147:148], v[151:152], -v[94:95]
	v_fma_f64 v[149:150], v[165:166], -0.5, v[161:162]
	v_fma_f64 v[151:152], v[167:168], -0.5, v[163:164]
	v_add_f64_e32 v[96:97], v[96:97], v[157:158]
	v_add_f64_e32 v[98:99], v[98:99], v[159:160]
	v_fma_f64 v[104:105], v[130:131], s[10:11], v[104:105]
	v_fma_f64 v[106:107], v[133:134], s[10:11], v[106:107]
	;; [unrolled: 1-line block ×12, first 2 shown]
	v_mul_f64_e32 v[92:93], s[2:3], v[145:146]
	v_mul_f64_e32 v[137:138], s[2:3], v[147:148]
	v_fma_f64 v[116:117], v[147:148], s[2:3], v[149:150]
	v_fma_f64 v[118:119], v[145:146], s[8:9], v[151:152]
	v_add_f64_e32 v[84:85], v[100:101], v[96:97]
	v_add_f64_e32 v[86:87], v[102:103], v[98:99]
	;; [unrolled: 1-line block ×3, first 2 shown]
	v_add_f64_e64 v[122:123], v[110:111], -v[104:105]
	v_add_f64_e32 v[112:113], v[133:134], v[112:113]
	v_add_f64_e64 v[114:115], v[114:115], -v[130:131]
	v_add_f64_e32 v[124:125], v[94:95], v[128:129]
	v_add_f64_e64 v[126:127], v[126:127], -v[135:136]
	v_fma_f64 v[100:101], v[137:138], -2.0, v[116:117]
	v_fma_f64 v[102:103], v[92:93], 2.0, v[118:119]
	v_add_f64_e32 v[84:85], v[88:89], v[84:85]
	v_add_f64_e32 v[86:87], v[90:91], v[86:87]
	v_fma_f64 v[88:89], v[106:107], -2.0, v[120:121]
	v_fma_f64 v[90:91], v[104:105], 2.0, v[122:123]
	v_fma_f64 v[108:109], v[133:134], -2.0, v[112:113]
	v_fma_f64 v[110:111], v[130:131], 2.0, v[114:115]
	;; [unrolled: 2-line block ×3, first 2 shown]
	ds_store_b128 v194, v[84:87]
	ds_store_b128 v194, v[120:123] offset:544
	ds_store_b128 v194, v[124:127] offset:1088
	;; [unrolled: 1-line block ×8, first 2 shown]
	global_wb scope:SCOPE_SE
	s_wait_dscnt 0x0
	s_barrier_signal -1
	s_barrier_wait -1
	global_inv scope:SCOPE_SE
	s_and_saveexec_b32 s1, vcc_lo
	s_cbranch_execz .LBB0_13
; %bb.12:
	global_load_b128 v[96:99], v199, s[12:13] offset:4896
	s_add_nc_u64 s[2:3], s[12:13], 0x1320
	s_clause 0x3
	global_load_b128 v[104:107], v199, s[2:3] offset:288
	global_load_b128 v[128:131], v199, s[2:3] offset:576
	;; [unrolled: 1-line block ×4, first 2 shown]
	ds_load_b128 v[141:144], v194
	ds_load_b128 v[145:148], v194 offset:288
	ds_load_b128 v[149:152], v194 offset:576
	s_wait_loadcnt_dscnt 0x301
	v_mul_f64_e32 v[157:158], v[147:148], v[106:107]
	v_mul_f64_e32 v[153:154], v[143:144], v[98:99]
	;; [unrolled: 1-line block ×4, first 2 shown]
	s_delay_alu instid0(VALU_DEP_4) | instskip(NEXT) | instid1(VALU_DEP_4)
	v_fma_f64 v[145:146], v[145:146], v[104:105], -v[157:158]
	v_fma_f64 v[141:142], v[141:142], v[96:97], -v[153:154]
	s_delay_alu instid0(VALU_DEP_4)
	v_fma_f64 v[143:144], v[143:144], v[96:97], v[98:99]
	ds_load_b128 v[96:99], v194 offset:864
	global_load_b128 v[153:156], v199, s[2:3] offset:1440
	v_fma_f64 v[147:148], v[147:148], v[104:105], v[106:107]
	s_wait_loadcnt_dscnt 0x301
	v_mul_f64_e32 v[104:105], v[151:152], v[130:131]
	v_mul_f64_e32 v[106:107], v[149:150], v[130:131]
	s_wait_loadcnt_dscnt 0x200
	v_mul_f64_e32 v[157:158], v[98:99], v[135:136]
	v_mul_f64_e32 v[135:136], v[96:97], v[135:136]
	s_delay_alu instid0(VALU_DEP_4) | instskip(NEXT) | instid1(VALU_DEP_4)
	v_fma_f64 v[104:105], v[149:150], v[128:129], -v[104:105]
	v_fma_f64 v[106:107], v[151:152], v[128:129], v[106:107]
	ds_load_b128 v[128:131], v194 offset:1152
	ds_load_b128 v[149:152], v194 offset:1440
	v_fma_f64 v[96:97], v[96:97], v[133:134], -v[157:158]
	v_fma_f64 v[98:99], v[98:99], v[133:134], v[135:136]
	global_load_b128 v[133:136], v199, s[2:3] offset:1728
	s_wait_loadcnt_dscnt 0x201
	v_mul_f64_e32 v[157:158], v[130:131], v[139:140]
	v_mul_f64_e32 v[139:140], v[128:129], v[139:140]
	s_delay_alu instid0(VALU_DEP_2) | instskip(NEXT) | instid1(VALU_DEP_2)
	v_fma_f64 v[128:129], v[128:129], v[137:138], -v[157:158]
	v_fma_f64 v[130:131], v[130:131], v[137:138], v[139:140]
	global_load_b128 v[137:140], v199, s[2:3] offset:2016
	s_wait_loadcnt_dscnt 0x200
	v_mul_f64_e32 v[157:158], v[151:152], v[155:156]
	v_mul_f64_e32 v[155:156], v[149:150], v[155:156]
	s_delay_alu instid0(VALU_DEP_2) | instskip(NEXT) | instid1(VALU_DEP_2)
	v_fma_f64 v[149:150], v[149:150], v[153:154], -v[157:158]
	v_fma_f64 v[151:152], v[151:152], v[153:154], v[155:156]
	ds_load_b128 v[153:156], v194 offset:1728
	ds_load_b128 v[157:160], v194 offset:2016
	s_wait_loadcnt_dscnt 0x101
	v_mul_f64_e32 v[161:162], v[155:156], v[135:136]
	v_mul_f64_e32 v[135:136], v[153:154], v[135:136]
	s_delay_alu instid0(VALU_DEP_2) | instskip(NEXT) | instid1(VALU_DEP_2)
	v_fma_f64 v[153:154], v[153:154], v[133:134], -v[161:162]
	v_fma_f64 v[155:156], v[155:156], v[133:134], v[135:136]
	s_wait_loadcnt_dscnt 0x0
	v_mul_f64_e32 v[133:134], v[159:160], v[139:140]
	v_mul_f64_e32 v[135:136], v[157:158], v[139:140]
	s_delay_alu instid0(VALU_DEP_2) | instskip(NEXT) | instid1(VALU_DEP_2)
	v_fma_f64 v[133:134], v[157:158], v[137:138], -v[133:134]
	v_fma_f64 v[135:136], v[159:160], v[137:138], v[135:136]
	s_clause 0x1
	global_load_b128 v[137:140], v199, s[2:3] offset:2304
	global_load_b128 v[157:160], v199, s[2:3] offset:2592
	ds_load_b128 v[161:164], v194 offset:2304
	ds_load_b128 v[165:168], v194 offset:2592
	s_wait_loadcnt_dscnt 0x101
	v_mul_f64_e32 v[169:170], v[163:164], v[139:140]
	v_mul_f64_e32 v[139:140], v[161:162], v[139:140]
	s_delay_alu instid0(VALU_DEP_2) | instskip(NEXT) | instid1(VALU_DEP_2)
	v_fma_f64 v[161:162], v[161:162], v[137:138], -v[169:170]
	v_fma_f64 v[163:164], v[163:164], v[137:138], v[139:140]
	s_wait_loadcnt_dscnt 0x0
	v_mul_f64_e32 v[137:138], v[167:168], v[159:160]
	v_mul_f64_e32 v[139:140], v[165:166], v[159:160]
	s_delay_alu instid0(VALU_DEP_2) | instskip(NEXT) | instid1(VALU_DEP_2)
	v_fma_f64 v[137:138], v[165:166], v[157:158], -v[137:138]
	v_fma_f64 v[139:140], v[167:168], v[157:158], v[139:140]
	s_clause 0x1
	global_load_b128 v[157:160], v199, s[2:3] offset:2880
	global_load_b128 v[165:168], v199, s[2:3] offset:3168
	ds_load_b128 v[169:172], v194 offset:2880
	ds_load_b128 v[173:176], v194 offset:3168
	s_wait_loadcnt_dscnt 0x101
	v_mul_f64_e32 v[177:178], v[171:172], v[159:160]
	v_mul_f64_e32 v[159:160], v[169:170], v[159:160]
	s_delay_alu instid0(VALU_DEP_2) | instskip(NEXT) | instid1(VALU_DEP_2)
	v_fma_f64 v[169:170], v[169:170], v[157:158], -v[177:178]
	v_fma_f64 v[171:172], v[171:172], v[157:158], v[159:160]
	s_wait_loadcnt_dscnt 0x0
	v_mul_f64_e32 v[157:158], v[175:176], v[167:168]
	v_mul_f64_e32 v[159:160], v[173:174], v[167:168]
	s_delay_alu instid0(VALU_DEP_2) | instskip(NEXT) | instid1(VALU_DEP_2)
	v_fma_f64 v[157:158], v[173:174], v[165:166], -v[157:158]
	v_fma_f64 v[159:160], v[175:176], v[165:166], v[159:160]
	s_clause 0x1
	global_load_b128 v[165:168], v199, s[2:3] offset:3456
	global_load_b128 v[173:176], v199, s[2:3] offset:3744
	ds_load_b128 v[177:180], v194 offset:3456
	ds_load_b128 v[181:184], v194 offset:3744
	s_wait_loadcnt_dscnt 0x101
	v_mul_f64_e32 v[185:186], v[179:180], v[167:168]
	v_mul_f64_e32 v[167:168], v[177:178], v[167:168]
	s_delay_alu instid0(VALU_DEP_2) | instskip(NEXT) | instid1(VALU_DEP_2)
	v_fma_f64 v[177:178], v[177:178], v[165:166], -v[185:186]
	v_fma_f64 v[179:180], v[179:180], v[165:166], v[167:168]
	s_wait_loadcnt_dscnt 0x0
	v_mul_f64_e32 v[165:166], v[183:184], v[175:176]
	v_mul_f64_e32 v[167:168], v[181:182], v[175:176]
	s_delay_alu instid0(VALU_DEP_2) | instskip(NEXT) | instid1(VALU_DEP_2)
	v_fma_f64 v[165:166], v[181:182], v[173:174], -v[165:166]
	v_fma_f64 v[167:168], v[183:184], v[173:174], v[167:168]
	s_clause 0x1
	global_load_b128 v[173:176], v199, s[2:3] offset:4032
	global_load_b128 v[181:184], v199, s[2:3] offset:4320
	ds_load_b128 v[185:188], v194 offset:4032
	ds_load_b128 v[189:192], v194 offset:4320
	s_wait_loadcnt_dscnt 0x101
	v_mul_f64_e32 v[200:201], v[187:188], v[175:176]
	v_mul_f64_e32 v[175:176], v[185:186], v[175:176]
	s_delay_alu instid0(VALU_DEP_2) | instskip(NEXT) | instid1(VALU_DEP_2)
	v_fma_f64 v[185:186], v[185:186], v[173:174], -v[200:201]
	v_fma_f64 v[187:188], v[187:188], v[173:174], v[175:176]
	s_wait_loadcnt_dscnt 0x0
	v_mul_f64_e32 v[173:174], v[191:192], v[183:184]
	v_mul_f64_e32 v[175:176], v[189:190], v[183:184]
	s_delay_alu instid0(VALU_DEP_2) | instskip(NEXT) | instid1(VALU_DEP_2)
	v_fma_f64 v[173:174], v[189:190], v[181:182], -v[173:174]
	v_fma_f64 v[175:176], v[191:192], v[181:182], v[175:176]
	global_load_b128 v[181:184], v199, s[2:3] offset:4608
	ds_load_b128 v[189:192], v194 offset:4608
	s_wait_loadcnt_dscnt 0x0
	v_mul_f64_e32 v[200:201], v[191:192], v[183:184]
	v_mul_f64_e32 v[183:184], v[189:190], v[183:184]
	s_delay_alu instid0(VALU_DEP_2) | instskip(NEXT) | instid1(VALU_DEP_2)
	v_fma_f64 v[189:190], v[189:190], v[181:182], -v[200:201]
	v_fma_f64 v[191:192], v[191:192], v[181:182], v[183:184]
	ds_store_b128 v194, v[141:144]
	ds_store_b128 v194, v[145:148] offset:288
	ds_store_b128 v194, v[104:107] offset:576
	;; [unrolled: 1-line block ×16, first 2 shown]
.LBB0_13:
	s_wait_alu 0xfffe
	s_or_b32 exec_lo, exec_lo, s1
	global_wb scope:SCOPE_SE
	s_wait_dscnt 0x0
	s_barrier_signal -1
	s_barrier_wait -1
	global_inv scope:SCOPE_SE
	s_and_saveexec_b32 s1, vcc_lo
	s_cbranch_execz .LBB0_15
; %bb.14:
	ds_load_b128 v[84:87], v194
	ds_load_b128 v[120:123], v194 offset:288
	ds_load_b128 v[124:127], v194 offset:576
	;; [unrolled: 1-line block ×16, first 2 shown]
.LBB0_15:
	s_wait_alu 0xfffe
	s_or_b32 exec_lo, exec_lo, s1
	s_wait_dscnt 0x0
	v_add_f64_e64 v[187:188], v[122:123], -v[2:3]
	v_add_f64_e32 v[189:190], v[122:123], v[2:3]
	s_mov_b32 s8, 0xacd6c6b4
	s_mov_b32 s2, 0x7faef3
	;; [unrolled: 1-line block ×4, first 2 shown]
	v_add_f64_e32 v[185:186], v[120:121], v[0:1]
	v_add_f64_e64 v[191:192], v[120:121], -v[0:1]
	v_add_f64_e64 v[139:140], v[126:127], -v[6:7]
	v_add_f64_e32 v[128:129], v[126:127], v[6:7]
	s_mov_b32 s24, 0x5d8e7cdc
	s_mov_b32 s10, 0x370991
	;; [unrolled: 1-line block ×5, first 2 shown]
	s_wait_alu 0xfffe
	s_mov_b32 s40, s8
	v_add_f64_e32 v[130:131], v[124:125], v[4:5]
	v_add_f64_e64 v[157:158], v[124:125], -v[4:5]
	v_add_f64_e64 v[145:146], v[118:119], -v[10:11]
	v_add_f64_e32 v[133:134], v[118:119], v[10:11]
	s_mov_b32 s18, 0x4363dd80
	s_mov_b32 s16, 0x910ea3b9
	;; [unrolled: 1-line block ×6, first 2 shown]
	v_add_f64_e32 v[135:136], v[116:117], v[8:9]
	v_add_f64_e64 v[141:142], v[116:117], -v[8:9]
	v_add_f64_e32 v[137:138], v[114:115], v[14:15]
	v_add_f64_e64 v[153:154], v[114:115], -v[14:15]
	s_mov_b32 s36, 0x2a9d6da3
	s_mov_b32 s20, 0x75d4884
	;; [unrolled: 1-line block ×4, first 2 shown]
	s_wait_alu 0xfffe
	s_mov_b32 s50, s18
	v_add_f64_e64 v[149:150], v[112:113], -v[12:13]
	v_add_f64_e64 v[161:162], v[110:111], -v[18:19]
	s_mov_b32 s22, 0x6ed5f1bb
	v_mul_f64_e32 v[96:97], s[8:9], v[187:188]
	v_mul_f64_e32 v[98:99], s[2:3], v[189:190]
	s_mov_b32 s31, 0xbfe58eea
	s_mov_b32 s23, 0xbfe348c8
	;; [unrolled: 1-line block ×3, first 2 shown]
	v_add_f64_e64 v[169:170], v[102:103], -v[22:23]
	s_mov_b32 s54, 0x7c9e640b
	s_mov_b32 s28, 0x2b2883cd
	v_mul_f64_e32 v[104:105], s[24:25], v[139:140]
	v_mul_f64_e32 v[106:107], s[10:11], v[128:129]
	s_mov_b32 s49, 0x3fe9895b
	s_mov_b32 s55, 0x3feca52d
	;; [unrolled: 1-line block ×8, first 2 shown]
	v_mul_f64_e32 v[151:152], s[18:19], v[145:146]
	v_mul_f64_e32 v[155:156], s[16:17], v[133:134]
	s_mov_b32 s35, 0xbfd183b1
	s_mov_b32 s46, s54
	;; [unrolled: 1-line block ×7, first 2 shown]
	s_wait_alu 0xfffe
	s_mov_b32 s56, s44
	v_mul_f64_e32 v[173:174], s[20:21], v[137:138]
	v_mul_f64_e32 v[171:172], s[36:37], v[153:154]
	s_mov_b32 s53, 0xbfefdd0d
	s_mov_b32 s52, s58
	global_wb scope:SCOPE_SE
	s_barrier_signal -1
	s_barrier_wait -1
	global_inv scope:SCOPE_SE
	v_fma_f64 v[143:144], v[185:186], s[2:3], v[96:97]
	v_fma_f64 v[147:148], v[191:192], s[40:41], v[98:99]
	v_fma_f64 v[96:97], v[185:186], s[2:3], -v[96:97]
	v_fma_f64 v[98:99], v[191:192], s[8:9], v[98:99]
	v_mul_f64_e32 v[204:205], s[54:55], v[169:170]
	v_fma_f64 v[159:160], v[130:131], s[10:11], v[104:105]
	v_fma_f64 v[163:164], v[157:158], s[38:39], v[106:107]
	v_fma_f64 v[104:105], v[130:131], s[10:11], -v[104:105]
	v_fma_f64 v[106:107], v[157:158], s[24:25], v[106:107]
	v_fma_f64 v[175:176], v[135:136], s[16:17], v[151:152]
	;; [unrolled: 1-line block ×3, first 2 shown]
	v_fma_f64 v[179:180], v[135:136], s[16:17], -v[151:152]
	v_fma_f64 v[181:182], v[141:142], s[18:19], v[155:156]
	v_add_f64_e32 v[151:152], v[108:109], v[16:17]
	v_add_f64_e32 v[155:156], v[102:103], v[22:23]
	v_fma_f64 v[183:184], v[149:150], s[30:31], v[173:174]
	v_fma_f64 v[200:201], v[149:150], s[36:37], v[173:174]
	v_add_f64_e64 v[173:174], v[100:101], -v[20:21]
	v_add_f64_e32 v[165:166], v[84:85], v[143:144]
	v_add_f64_e32 v[167:168], v[86:87], v[147:148]
	v_add_f64_e32 v[96:97], v[84:85], v[96:97]
	v_add_f64_e32 v[98:99], v[86:87], v[98:99]
	v_add_f64_e32 v[143:144], v[112:113], v[12:13]
	v_add_f64_e32 v[147:148], v[110:111], v[18:19]
	v_mul_f64_e32 v[206:207], s[28:29], v[155:156]
	v_add_f64_e32 v[159:160], v[159:160], v[165:166]
	v_add_f64_e32 v[163:164], v[163:164], v[167:168]
	;; [unrolled: 1-line block ×4, first 2 shown]
	v_add_f64_e64 v[165:166], v[108:109], -v[16:17]
	v_mul_f64_e32 v[104:105], s[26:27], v[161:162]
	v_mul_f64_e32 v[106:107], s[22:23], v[147:148]
	v_fma_f64 v[167:168], v[143:144], s[20:21], v[171:172]
	v_fma_f64 v[171:172], v[143:144], s[20:21], -v[171:172]
	v_fma_f64 v[214:215], v[173:174], s[46:47], v[206:207]
	v_fma_f64 v[206:207], v[173:174], s[54:55], v[206:207]
	v_add_f64_e32 v[175:176], v[175:176], v[159:160]
	v_add_f64_e32 v[202:203], v[177:178], v[163:164]
	;; [unrolled: 1-line block ×6, first 2 shown]
	v_add_f64_e64 v[177:178], v[94:95], -v[26:27]
	v_fma_f64 v[208:209], v[151:152], s[22:23], v[104:105]
	v_fma_f64 v[210:211], v[165:166], s[48:49], v[106:107]
	v_fma_f64 v[104:105], v[151:152], s[22:23], -v[104:105]
	v_fma_f64 v[106:107], v[165:166], s[26:27], v[106:107]
	v_add_f64_e64 v[179:180], v[92:93], -v[24:25]
	v_add_f64_e64 v[181:182], v[90:91], -v[82:83]
	v_add_f64_e32 v[175:176], v[167:168], v[175:176]
	v_add_f64_e32 v[183:184], v[183:184], v[202:203]
	;; [unrolled: 1-line block ×6, first 2 shown]
	v_mul_f64_e32 v[200:201], s[44:45], v[177:178]
	v_mul_f64_e32 v[202:203], s[34:35], v[163:164]
	v_fma_f64 v[212:213], v[159:160], s[28:29], v[204:205]
	v_fma_f64 v[204:205], v[159:160], s[28:29], -v[204:205]
	v_add_f64_e32 v[208:209], v[208:209], v[175:176]
	v_add_f64_e32 v[210:211], v[210:211], v[183:184]
	;; [unrolled: 1-line block ×5, first 2 shown]
	v_add_f64_e64 v[183:184], v[88:89], -v[80:81]
	v_mul_f64_e32 v[104:105], s[58:59], v[181:182]
	v_mul_f64_e32 v[106:107], s[42:43], v[171:172]
	v_fma_f64 v[216:217], v[167:168], s[34:35], v[200:201]
	v_fma_f64 v[218:219], v[179:180], s[56:57], v[202:203]
	v_fma_f64 v[200:201], v[167:168], s[34:35], -v[200:201]
	v_fma_f64 v[202:203], v[179:180], s[44:45], v[202:203]
	v_add_f64_e32 v[208:209], v[212:213], v[208:209]
	v_add_f64_e32 v[210:211], v[214:215], v[210:211]
	;; [unrolled: 1-line block ×4, first 2 shown]
	v_fma_f64 v[204:205], v[175:176], s[42:43], v[104:105]
	s_wait_alu 0xfffe
	v_fma_f64 v[206:207], v[183:184], s[52:53], v[106:107]
	v_fma_f64 v[104:105], v[175:176], s[42:43], -v[104:105]
	v_fma_f64 v[106:107], v[183:184], s[58:59], v[106:107]
	v_add_f64_e32 v[208:209], v[216:217], v[208:209]
	v_add_f64_e32 v[210:211], v[218:219], v[210:211]
	;; [unrolled: 1-line block ×4, first 2 shown]
	s_delay_alu instid0(VALU_DEP_4) | instskip(NEXT) | instid1(VALU_DEP_4)
	v_add_f64_e32 v[96:97], v[204:205], v[208:209]
	v_add_f64_e32 v[98:99], v[206:207], v[210:211]
	s_delay_alu instid0(VALU_DEP_4) | instskip(NEXT) | instid1(VALU_DEP_4)
	v_add_f64_e32 v[104:105], v[104:105], v[200:201]
	v_add_f64_e32 v[106:107], v[106:107], v[202:203]
	s_and_saveexec_b32 s1, vcc_lo
	s_cbranch_execz .LBB0_17
; %bb.16:
	v_add_f64_e32 v[120:121], v[84:85], v[120:121]
	v_add_f64_e32 v[122:123], v[86:87], v[122:123]
	v_mul_f64_e32 v[212:213], s[44:45], v[181:182]
	v_mul_f64_e32 v[214:215], s[50:51], v[161:162]
	;; [unrolled: 1-line block ×16, first 2 shown]
	v_add_f64_e32 v[120:121], v[120:121], v[124:125]
	v_add_f64_e32 v[122:123], v[122:123], v[126:127]
	s_delay_alu instid0(VALU_DEP_2) | instskip(NEXT) | instid1(VALU_DEP_2)
	v_add_f64_e32 v[116:117], v[120:121], v[116:117]
	v_add_f64_e32 v[118:119], v[122:123], v[118:119]
	s_delay_alu instid0(VALU_DEP_2) | instskip(NEXT) | instid1(VALU_DEP_2)
	;; [unrolled: 3-line block ×4, first 2 shown]
	v_add_f64_e32 v[100:101], v[108:109], v[100:101]
	v_add_f64_e32 v[102:103], v[110:111], v[102:103]
	v_mul_f64_e32 v[108:109], s[38:39], v[187:188]
	s_delay_alu instid0(VALU_DEP_3) | instskip(NEXT) | instid1(VALU_DEP_3)
	v_add_f64_e32 v[92:93], v[100:101], v[92:93]
	v_add_f64_e32 v[94:95], v[102:103], v[94:95]
	v_mul_f64_e32 v[100:101], s[46:47], v[187:188]
	v_mul_f64_e32 v[102:103], s[30:31], v[187:188]
	v_fma_f64 v[122:123], v[185:186], s[10:11], v[108:109]
	v_fma_f64 v[108:109], v[185:186], s[10:11], -v[108:109]
	v_add_f64_e32 v[88:89], v[92:93], v[88:89]
	v_add_f64_e32 v[90:91], v[94:95], v[90:91]
	v_mul_f64_e32 v[92:93], s[44:45], v[187:188]
	v_mul_f64_e32 v[94:95], s[52:53], v[187:188]
	v_fma_f64 v[118:119], v[185:186], s[28:29], -v[100:101]
	v_fma_f64 v[100:101], v[185:186], s[28:29], v[100:101]
	v_fma_f64 v[120:121], v[185:186], s[20:21], v[102:103]
	v_fma_f64 v[102:103], v[185:186], s[20:21], -v[102:103]
	v_add_f64_e32 v[122:123], v[84:85], v[122:123]
	v_add_f64_e32 v[80:81], v[88:89], v[80:81]
	;; [unrolled: 1-line block ×3, first 2 shown]
	v_mul_f64_e32 v[88:89], s[18:19], v[187:188]
	v_mul_f64_e32 v[90:91], s[26:27], v[187:188]
	v_fma_f64 v[114:115], v[185:186], s[34:35], -v[92:93]
	v_fma_f64 v[92:93], v[185:186], s[34:35], v[92:93]
	v_fma_f64 v[116:117], v[185:186], s[42:43], -v[94:95]
	v_fma_f64 v[94:95], v[185:186], s[42:43], v[94:95]
	v_add_f64_e32 v[118:119], v[84:85], v[118:119]
	v_add_f64_e32 v[100:101], v[84:85], v[100:101]
	;; [unrolled: 1-line block ×5, first 2 shown]
	v_fma_f64 v[110:111], v[185:186], s[16:17], -v[88:89]
	v_fma_f64 v[88:89], v[185:186], s[16:17], v[88:89]
	v_fma_f64 v[112:113], v[185:186], s[22:23], -v[90:91]
	v_fma_f64 v[90:91], v[185:186], s[22:23], v[90:91]
	v_add_f64_e32 v[114:115], v[84:85], v[114:115]
	v_add_f64_e32 v[92:93], v[84:85], v[92:93]
	;; [unrolled: 1-line block ×12, first 2 shown]
	s_delay_alu instid0(VALU_DEP_2) | instskip(NEXT) | instid1(VALU_DEP_2)
	v_add_f64_e32 v[12:13], v[16:17], v[12:13]
	v_add_f64_e32 v[14:15], v[18:19], v[14:15]
	v_mul_f64_e32 v[16:17], s[38:39], v[191:192]
	s_delay_alu instid0(VALU_DEP_3) | instskip(NEXT) | instid1(VALU_DEP_3)
	v_add_f64_e32 v[8:9], v[12:13], v[8:9]
	v_add_f64_e32 v[10:11], v[14:15], v[10:11]
	v_mul_f64_e32 v[12:13], s[46:47], v[191:192]
	v_mul_f64_e32 v[14:15], s[30:31], v[191:192]
	v_fma_f64 v[82:83], v[189:190], s[10:11], v[16:17]
	v_fma_f64 v[16:17], v[189:190], s[10:11], -v[16:17]
	v_add_f64_e32 v[4:5], v[8:9], v[4:5]
	v_mul_f64_e32 v[8:9], s[44:45], v[191:192]
	v_add_f64_e32 v[6:7], v[10:11], v[6:7]
	v_mul_f64_e32 v[10:11], s[52:53], v[191:192]
	v_fma_f64 v[26:27], v[189:190], s[28:29], v[12:13]
	v_fma_f64 v[12:13], v[189:190], s[28:29], -v[12:13]
	v_fma_f64 v[80:81], v[189:190], s[20:21], v[14:15]
	v_fma_f64 v[14:15], v[189:190], s[20:21], -v[14:15]
	v_add_f64_e32 v[206:207], v[86:87], v[16:17]
	v_add_f64_e32 v[0:1], v[4:5], v[0:1]
	v_mul_f64_e32 v[4:5], s[18:19], v[191:192]
	v_fma_f64 v[22:23], v[189:190], s[34:35], v[8:9]
	v_fma_f64 v[8:9], v[189:190], s[34:35], -v[8:9]
	v_add_f64_e32 v[2:3], v[6:7], v[2:3]
	v_mul_f64_e32 v[6:7], s[26:27], v[191:192]
	v_fma_f64 v[24:25], v[189:190], s[42:43], v[10:11]
	v_fma_f64 v[10:11], v[189:190], s[42:43], -v[10:11]
	v_add_f64_e32 v[200:201], v[86:87], v[12:13]
	v_mul_f64_e32 v[12:13], s[52:53], v[141:142]
	v_add_f64_e32 v[191:192], v[86:87], v[26:27]
	v_fma_f64 v[18:19], v[189:190], s[16:17], v[4:5]
	v_fma_f64 v[4:5], v[189:190], s[16:17], -v[4:5]
	v_add_f64_e32 v[185:186], v[86:87], v[8:9]
	v_mul_f64_e32 v[8:9], s[54:55], v[157:158]
	scratch_store_b128 off, v[0:3], off offset:8 ; 16-byte Folded Spill
	v_fma_f64 v[20:21], v[189:190], s[22:23], v[6:7]
	v_fma_f64 v[6:7], v[189:190], s[22:23], -v[6:7]
	v_add_f64_e32 v[189:190], v[86:87], v[10:11]
	v_add_f64_e32 v[0:1], v[86:87], v[80:81]
	v_add_f64_e32 v[80:81], v[86:87], v[14:15]
	v_mul_f64_e32 v[10:11], s[54:55], v[139:140]
	v_fma_f64 v[14:15], v[133:134], s[42:43], v[12:13]
	v_add_f64_e32 v[187:188], v[86:87], v[24:25]
	v_fma_f64 v[12:13], v[133:134], s[42:43], -v[12:13]
	v_add_f64_e32 v[22:23], v[86:87], v[22:23]
	v_add_f64_e32 v[18:19], v[86:87], v[18:19]
	;; [unrolled: 1-line block ×3, first 2 shown]
	v_fma_f64 v[4:5], v[128:129], s[28:29], v[8:9]
	v_fma_f64 v[8:9], v[128:129], s[28:29], -v[8:9]
	v_add_f64_e32 v[20:21], v[86:87], v[20:21]
	v_add_f64_e32 v[126:127], v[86:87], v[6:7]
	scratch_store_b64 off, v[0:1], off offset:88 ; 8-byte Folded Spill
	v_add_f64_e32 v[0:1], v[84:85], v[102:103]
	v_fma_f64 v[6:7], v[130:131], s[28:29], -v[10:11]
	v_fma_f64 v[10:11], v[130:131], s[28:29], v[10:11]
	v_add_f64_e32 v[4:5], v[4:5], v[18:19]
	v_add_f64_e32 v[8:9], v[8:9], v[124:125]
	v_mul_f64_e32 v[124:125], s[54:55], v[183:184]
	scratch_store_b64 off, v[0:1], off offset:96 ; 8-byte Folded Spill
	v_add_f64_e32 v[6:7], v[6:7], v[110:111]
	v_add_f64_e32 v[0:1], v[86:87], v[82:83]
	;; [unrolled: 1-line block ×3, first 2 shown]
	v_mul_f64_e32 v[110:111], s[44:45], v[183:184]
	v_add_f64_e32 v[4:5], v[14:15], v[4:5]
	v_mul_f64_e32 v[14:15], s[52:53], v[145:146]
	v_add_f64_e32 v[8:9], v[12:13], v[8:9]
	scratch_store_b64 off, v[0:1], off offset:64 ; 8-byte Folded Spill
	v_add_f64_e32 v[0:1], v[84:85], v[108:109]
	v_fma_f64 v[16:17], v[135:136], s[42:43], -v[14:15]
	v_fma_f64 v[12:13], v[135:136], s[42:43], v[14:15]
	v_fma_f64 v[14:15], v[175:176], s[34:35], v[212:213]
	scratch_store_b64 off, v[0:1], off offset:56 ; 8-byte Folded Spill
	v_add_f64_e32 v[6:7], v[16:17], v[6:7]
	v_mul_f64_e32 v[16:17], s[48:49], v[149:150]
	v_add_f64_e32 v[10:11], v[12:13], v[10:11]
	s_delay_alu instid0(VALU_DEP_2) | instskip(SKIP_2) | instid1(VALU_DEP_3)
	v_fma_f64 v[18:19], v[137:138], s[22:23], v[16:17]
	v_fma_f64 v[12:13], v[137:138], s[22:23], -v[16:17]
	v_mul_f64_e32 v[16:17], s[56:57], v[157:158]
	v_add_f64_e32 v[4:5], v[18:19], v[4:5]
	v_mul_f64_e32 v[18:19], s[48:49], v[153:154]
	s_delay_alu instid0(VALU_DEP_4) | instskip(NEXT) | instid1(VALU_DEP_2)
	v_add_f64_e32 v[8:9], v[12:13], v[8:9]
	v_fma_f64 v[24:25], v[143:144], s[22:23], -v[18:19]
	v_fma_f64 v[12:13], v[143:144], s[22:23], v[18:19]
	v_mul_f64_e32 v[18:19], s[56:57], v[139:140]
	s_delay_alu instid0(VALU_DEP_3) | instskip(SKIP_1) | instid1(VALU_DEP_4)
	v_add_f64_e32 v[6:7], v[24:25], v[6:7]
	v_mul_f64_e32 v[24:25], s[38:39], v[165:166]
	v_add_f64_e32 v[10:11], v[12:13], v[10:11]
	s_delay_alu instid0(VALU_DEP_2) | instskip(SKIP_1) | instid1(VALU_DEP_2)
	v_fma_f64 v[26:27], v[147:148], s[10:11], v[24:25]
	v_fma_f64 v[12:13], v[147:148], s[10:11], -v[24:25]
	v_add_f64_e32 v[4:5], v[26:27], v[4:5]
	v_mul_f64_e32 v[26:27], s[38:39], v[161:162]
	s_delay_alu instid0(VALU_DEP_3) | instskip(NEXT) | instid1(VALU_DEP_2)
	v_add_f64_e32 v[8:9], v[12:13], v[8:9]
	v_fma_f64 v[82:83], v[151:152], s[10:11], -v[26:27]
	v_fma_f64 v[12:13], v[151:152], s[10:11], v[26:27]
	s_delay_alu instid0(VALU_DEP_2) | instskip(SKIP_1) | instid1(VALU_DEP_3)
	v_add_f64_e32 v[6:7], v[82:83], v[6:7]
	v_mul_f64_e32 v[82:83], s[8:9], v[173:174]
	v_add_f64_e32 v[10:11], v[12:13], v[10:11]
	s_delay_alu instid0(VALU_DEP_2) | instskip(SKIP_1) | instid1(VALU_DEP_2)
	v_fma_f64 v[84:85], v[155:156], s[2:3], v[82:83]
	v_fma_f64 v[12:13], v[155:156], s[2:3], -v[82:83]
	v_add_f64_e32 v[4:5], v[84:85], v[4:5]
	v_mul_f64_e32 v[84:85], s[8:9], v[169:170]
	s_delay_alu instid0(VALU_DEP_3) | instskip(NEXT) | instid1(VALU_DEP_2)
	v_add_f64_e32 v[8:9], v[12:13], v[8:9]
	v_fma_f64 v[86:87], v[159:160], s[2:3], -v[84:85]
	v_fma_f64 v[12:13], v[159:160], s[2:3], v[84:85]
	s_delay_alu instid0(VALU_DEP_2) | instskip(SKIP_1) | instid1(VALU_DEP_3)
	;; [unrolled: 13-line block ×3, first 2 shown]
	v_add_f64_e32 v[108:109], v[108:109], v[6:7]
	v_fma_f64 v[6:7], v[171:172], s[34:35], v[110:111]
	v_add_f64_e32 v[12:13], v[12:13], v[10:11]
	v_fma_f64 v[10:11], v[171:172], s[34:35], -v[110:111]
	s_delay_alu instid0(VALU_DEP_3) | instskip(SKIP_3) | instid1(VALU_DEP_3)
	v_add_f64_e32 v[2:3], v[6:7], v[4:5]
	v_fma_f64 v[4:5], v[175:176], s[34:35], -v[212:213]
	v_mul_f64_e32 v[212:213], s[54:55], v[181:182]
	v_dual_mov_b32 v6, v179 :: v_dual_mov_b32 v7, v180
	v_add_f64_e32 v[0:1], v[4:5], v[108:109]
	v_dual_mov_b32 v4, v153 :: v_dual_mov_b32 v5, v154
	scratch_store_b128 off, v[0:3], off offset:24 ; 16-byte Folded Spill
	v_add_f64_e32 v[0:1], v[14:15], v[12:13]
	v_fma_f64 v[12:13], v[128:129], s[34:35], v[16:17]
	v_fma_f64 v[14:15], v[130:131], s[34:35], -v[18:19]
	v_fma_f64 v[16:17], v[128:129], s[34:35], -v[16:17]
	v_fma_f64 v[18:19], v[130:131], s[34:35], v[18:19]
	v_add_f64_e32 v[2:3], v[10:11], v[8:9]
	v_dual_mov_b32 v8, v32 :: v_dual_mov_b32 v11, v35
	v_dual_mov_b32 v10, v34 :: v_dual_mov_b32 v9, v33
	;; [unrolled: 1-line block ×3, first 2 shown]
	v_add_f64_e32 v[12:13], v[12:13], v[20:21]
	v_mul_f64_e32 v[20:21], s[38:39], v[141:142]
	v_add_f64_e32 v[14:15], v[14:15], v[112:113]
	v_add_f64_e32 v[16:17], v[16:17], v[126:127]
	;; [unrolled: 1-line block ×3, first 2 shown]
	scratch_store_b128 off, v[0:3], off offset:40 ; 16-byte Folded Spill
	v_mul_f64_e32 v[126:127], s[26:27], v[183:184]
	v_fma_f64 v[24:25], v[133:134], s[10:11], v[20:21]
	v_fma_f64 v[20:21], v[133:134], s[10:11], -v[20:21]
	s_delay_alu instid0(VALU_DEP_2) | instskip(SKIP_1) | instid1(VALU_DEP_3)
	v_add_f64_e32 v[12:13], v[24:25], v[12:13]
	v_mul_f64_e32 v[24:25], s[38:39], v[145:146]
	v_add_f64_e32 v[16:17], v[20:21], v[16:17]
	s_delay_alu instid0(VALU_DEP_2) | instskip(SKIP_2) | instid1(VALU_DEP_3)
	v_fma_f64 v[26:27], v[135:136], s[10:11], -v[24:25]
	v_fma_f64 v[20:21], v[135:136], s[10:11], v[24:25]
	v_fma_f64 v[24:25], v[175:176], s[28:29], v[212:213]
	v_add_f64_e32 v[14:15], v[26:27], v[14:15]
	v_mul_f64_e32 v[26:27], s[18:19], v[149:150]
	s_delay_alu instid0(VALU_DEP_4) | instskip(NEXT) | instid1(VALU_DEP_2)
	v_add_f64_e32 v[18:19], v[20:21], v[18:19]
	v_fma_f64 v[82:83], v[137:138], s[16:17], v[26:27]
	v_fma_f64 v[20:21], v[137:138], s[16:17], -v[26:27]
	v_mul_f64_e32 v[26:27], s[50:51], v[139:140]
	s_delay_alu instid0(VALU_DEP_3) | instskip(SKIP_1) | instid1(VALU_DEP_4)
	v_add_f64_e32 v[12:13], v[82:83], v[12:13]
	v_mul_f64_e32 v[82:83], s[18:19], v[153:154]
	v_add_f64_e32 v[16:17], v[20:21], v[16:17]
	s_delay_alu instid0(VALU_DEP_2) | instskip(SKIP_2) | instid1(VALU_DEP_3)
	v_fma_f64 v[84:85], v[143:144], s[16:17], -v[82:83]
	v_fma_f64 v[20:21], v[143:144], s[16:17], v[82:83]
	v_mul_f64_e32 v[82:83], s[36:37], v[141:142]
	v_add_f64_e32 v[14:15], v[84:85], v[14:15]
	v_mul_f64_e32 v[84:85], s[58:59], v[165:166]
	s_delay_alu instid0(VALU_DEP_4) | instskip(NEXT) | instid1(VALU_DEP_2)
	v_add_f64_e32 v[18:19], v[20:21], v[18:19]
	v_fma_f64 v[86:87], v[147:148], s[42:43], v[84:85]
	v_fma_f64 v[20:21], v[147:148], s[42:43], -v[84:85]
	v_fma_f64 v[84:85], v[133:134], s[20:21], v[82:83]
	v_fma_f64 v[82:83], v[133:134], s[20:21], -v[82:83]
	s_delay_alu instid0(VALU_DEP_4) | instskip(SKIP_2) | instid1(VALU_DEP_2)
	v_add_f64_e32 v[12:13], v[86:87], v[12:13]
	v_mul_f64_e32 v[86:87], s[58:59], v[161:162]
	v_add_f64_e32 v[16:17], v[20:21], v[16:17]
	v_fma_f64 v[88:89], v[151:152], s[42:43], -v[86:87]
	v_fma_f64 v[20:21], v[151:152], s[42:43], v[86:87]
	s_delay_alu instid0(VALU_DEP_2) | instskip(SKIP_1) | instid1(VALU_DEP_3)
	v_add_f64_e32 v[14:15], v[88:89], v[14:15]
	v_mul_f64_e32 v[88:89], s[30:31], v[173:174]
	v_add_f64_e32 v[18:19], v[20:21], v[18:19]
	s_delay_alu instid0(VALU_DEP_2) | instskip(SKIP_1) | instid1(VALU_DEP_2)
	v_fma_f64 v[102:103], v[155:156], s[20:21], v[88:89]
	v_fma_f64 v[20:21], v[155:156], s[20:21], -v[88:89]
	v_add_f64_e32 v[12:13], v[102:103], v[12:13]
	v_mul_f64_e32 v[102:103], s[30:31], v[169:170]
	s_delay_alu instid0(VALU_DEP_3) | instskip(NEXT) | instid1(VALU_DEP_2)
	v_add_f64_e32 v[16:17], v[20:21], v[16:17]
	v_fma_f64 v[108:109], v[159:160], s[20:21], -v[102:103]
	v_fma_f64 v[20:21], v[159:160], s[20:21], v[102:103]
	s_delay_alu instid0(VALU_DEP_2) | instskip(SKIP_1) | instid1(VALU_DEP_3)
	v_add_f64_e32 v[14:15], v[108:109], v[14:15]
	v_mul_f64_e32 v[108:109], s[8:9], v[179:180]
	v_add_f64_e32 v[18:19], v[20:21], v[18:19]
	s_delay_alu instid0(VALU_DEP_2) | instskip(SKIP_1) | instid1(VALU_DEP_2)
	v_fma_f64 v[110:111], v[163:164], s[2:3], v[108:109]
	v_fma_f64 v[20:21], v[163:164], s[2:3], -v[108:109]
	v_add_f64_e32 v[12:13], v[110:111], v[12:13]
	v_mul_f64_e32 v[110:111], s[8:9], v[177:178]
	s_delay_alu instid0(VALU_DEP_3) | instskip(NEXT) | instid1(VALU_DEP_2)
	v_add_f64_e32 v[16:17], v[20:21], v[16:17]
	v_fma_f64 v[20:21], v[167:168], s[2:3], v[110:111]
	v_fma_f64 v[112:113], v[167:168], s[2:3], -v[110:111]
	s_delay_alu instid0(VALU_DEP_2) | instskip(SKIP_1) | instid1(VALU_DEP_3)
	v_add_f64_e32 v[20:21], v[20:21], v[18:19]
	v_fma_f64 v[18:19], v[171:172], s[28:29], -v[124:125]
	v_add_f64_e32 v[112:113], v[112:113], v[14:15]
	v_fma_f64 v[14:15], v[171:172], s[28:29], v[124:125]
	s_delay_alu instid0(VALU_DEP_3) | instskip(SKIP_2) | instid1(VALU_DEP_4)
	v_add_f64_e32 v[18:19], v[18:19], v[16:17]
	v_add_f64_e32 v[16:17], v[24:25], v[20:21]
	v_mul_f64_e32 v[24:25], s[50:51], v[157:158]
	v_add_f64_e32 v[2:3], v[14:15], v[12:13]
	v_fma_f64 v[12:13], v[175:176], s[28:29], -v[212:213]
	v_mul_f64_e32 v[212:213], s[26:27], v[181:182]
	s_delay_alu instid0(VALU_DEP_4) | instskip(SKIP_1) | instid1(VALU_DEP_4)
	v_fma_f64 v[20:21], v[128:129], s[16:17], v[24:25]
	v_fma_f64 v[24:25], v[128:129], s[16:17], -v[24:25]
	v_add_f64_e32 v[0:1], v[12:13], v[112:113]
	v_mov_b32_e32 v12, v220
	v_mul_f64_e32 v[220:221], s[54:55], v[179:180]
	v_add_f64_e32 v[20:21], v[20:21], v[22:23]
	v_fma_f64 v[22:23], v[130:131], s[16:17], -v[26:27]
	v_add_f64_e32 v[24:25], v[24:25], v[185:186]
	v_fma_f64 v[26:27], v[130:131], s[16:17], v[26:27]
	v_mul_f64_e32 v[185:186], s[8:9], v[153:154]
	scratch_store_b128 off, v[0:3], off offset:72 ; 16-byte Folded Spill
	v_dual_mov_b32 v0, v227 :: v_dual_mov_b32 v3, v197
	v_dual_mov_b32 v1, v195 :: v_dual_mov_b32 v2, v196
	v_add_f64_e32 v[20:21], v[84:85], v[20:21]
	v_mul_f64_e32 v[84:85], s[36:37], v[145:146]
	v_add_f64_e32 v[22:23], v[22:23], v[114:115]
	v_add_f64_e32 v[26:27], v[26:27], v[92:93]
	;; [unrolled: 1-line block ×3, first 2 shown]
	v_mul_f64_e32 v[92:93], s[8:9], v[157:158]
	v_fma_f64 v[86:87], v[135:136], s[20:21], -v[84:85]
	v_fma_f64 v[82:83], v[135:136], s[20:21], v[84:85]
	v_fma_f64 v[84:85], v[175:176], s[22:23], v[212:213]
	s_delay_alu instid0(VALU_DEP_3) | instskip(SKIP_1) | instid1(VALU_DEP_4)
	v_add_f64_e32 v[22:23], v[86:87], v[22:23]
	v_mul_f64_e32 v[86:87], s[46:47], v[149:150]
	v_add_f64_e32 v[26:27], v[82:83], v[26:27]
	s_delay_alu instid0(VALU_DEP_2) | instskip(SKIP_1) | instid1(VALU_DEP_2)
	v_fma_f64 v[88:89], v[137:138], s[28:29], v[86:87]
	v_fma_f64 v[82:83], v[137:138], s[28:29], -v[86:87]
	v_add_f64_e32 v[20:21], v[88:89], v[20:21]
	v_mul_f64_e32 v[88:89], s[46:47], v[153:154]
	s_delay_alu instid0(VALU_DEP_3) | instskip(NEXT) | instid1(VALU_DEP_2)
	v_add_f64_e32 v[24:25], v[82:83], v[24:25]
	v_fma_f64 v[90:91], v[143:144], s[28:29], -v[88:89]
	v_fma_f64 v[82:83], v[143:144], s[28:29], v[88:89]
	s_delay_alu instid0(VALU_DEP_2) | instskip(SKIP_1) | instid1(VALU_DEP_3)
	v_add_f64_e32 v[22:23], v[90:91], v[22:23]
	v_mul_f64_e32 v[90:91], s[8:9], v[165:166]
	v_add_f64_e32 v[26:27], v[82:83], v[26:27]
	s_delay_alu instid0(VALU_DEP_2) | instskip(SKIP_1) | instid1(VALU_DEP_2)
	v_fma_f64 v[102:103], v[147:148], s[2:3], v[90:91]
	v_fma_f64 v[82:83], v[147:148], s[2:3], -v[90:91]
	v_add_f64_e32 v[20:21], v[102:103], v[20:21]
	v_mul_f64_e32 v[102:103], s[8:9], v[161:162]
	s_delay_alu instid0(VALU_DEP_3) | instskip(NEXT) | instid1(VALU_DEP_2)
	v_add_f64_e32 v[24:25], v[82:83], v[24:25]
	v_fma_f64 v[108:109], v[151:152], s[2:3], -v[102:103]
	v_fma_f64 v[82:83], v[151:152], s[2:3], v[102:103]
	v_mul_f64_e32 v[102:103], s[26:27], v[157:158]
	s_delay_alu instid0(VALU_DEP_3) | instskip(SKIP_1) | instid1(VALU_DEP_4)
	v_add_f64_e32 v[22:23], v[108:109], v[22:23]
	v_mul_f64_e32 v[108:109], s[58:59], v[173:174]
	v_add_f64_e32 v[26:27], v[82:83], v[26:27]
	s_delay_alu instid0(VALU_DEP_2) | instskip(SKIP_2) | instid1(VALU_DEP_3)
	v_fma_f64 v[110:111], v[155:156], s[42:43], v[108:109]
	v_fma_f64 v[82:83], v[155:156], s[42:43], -v[108:109]
	v_mul_f64_e32 v[108:109], s[26:27], v[139:140]
	v_add_f64_e32 v[20:21], v[110:111], v[20:21]
	v_mul_f64_e32 v[110:111], s[58:59], v[169:170]
	s_delay_alu instid0(VALU_DEP_4) | instskip(NEXT) | instid1(VALU_DEP_4)
	v_add_f64_e32 v[24:25], v[82:83], v[24:25]
	v_fma_f64 v[86:87], v[130:131], s[22:23], v[108:109]
	v_fma_f64 v[108:109], v[130:131], s[22:23], -v[108:109]
	s_delay_alu instid0(VALU_DEP_4) | instskip(SKIP_1) | instid1(VALU_DEP_4)
	v_fma_f64 v[112:113], v[159:160], s[42:43], -v[110:111]
	v_fma_f64 v[82:83], v[159:160], s[42:43], v[110:111]
	v_add_f64_e32 v[86:87], v[86:87], v[100:101]
	v_mul_f64_e32 v[100:101], s[40:41], v[141:142]
	v_mul_f64_e32 v[110:111], s[40:41], v[145:146]
	v_add_f64_e32 v[108:109], v[108:109], v[118:119]
	v_add_f64_e32 v[22:23], v[112:113], v[22:23]
	v_mul_f64_e32 v[112:113], s[38:39], v[179:180]
	v_add_f64_e32 v[26:27], v[82:83], v[26:27]
	v_fma_f64 v[88:89], v[133:134], s[2:3], -v[100:101]
	v_dual_mov_b32 v180, v150 :: v_dual_mov_b32 v179, v149
	v_fma_f64 v[100:101], v[133:134], s[2:3], v[100:101]
	v_fma_f64 v[114:115], v[163:164], s[10:11], v[112:113]
	v_fma_f64 v[82:83], v[163:164], s[10:11], -v[112:113]
	v_mul_f64_e32 v[112:113], s[52:53], v[157:158]
	s_delay_alu instid0(VALU_DEP_3) | instskip(SKIP_1) | instid1(VALU_DEP_4)
	v_add_f64_e32 v[20:21], v[114:115], v[20:21]
	v_mul_f64_e32 v[114:115], s[38:39], v[177:178]
	v_add_f64_e32 v[24:25], v[82:83], v[24:25]
	s_delay_alu instid0(VALU_DEP_2) | instskip(SKIP_2) | instid1(VALU_DEP_3)
	v_fma_f64 v[82:83], v[167:168], s[10:11], v[114:115]
	v_fma_f64 v[124:125], v[167:168], s[10:11], -v[114:115]
	v_mul_f64_e32 v[114:115], s[52:53], v[139:140]
	v_add_f64_e32 v[82:83], v[82:83], v[26:27]
	v_fma_f64 v[26:27], v[171:172], s[22:23], -v[126:127]
	s_delay_alu instid0(VALU_DEP_4) | instskip(SKIP_2) | instid1(VALU_DEP_4)
	v_add_f64_e32 v[124:125], v[124:125], v[22:23]
	v_fma_f64 v[22:23], v[171:172], s[22:23], v[126:127]
	v_mul_f64_e32 v[126:127], s[8:9], v[149:150]
	v_add_f64_e32 v[26:27], v[26:27], v[24:25]
	v_add_f64_e32 v[24:25], v[84:85], v[82:83]
	v_fma_f64 v[82:83], v[128:129], s[42:43], -v[112:113]
	v_add_f64_e32 v[22:23], v[22:23], v[20:21]
	v_fma_f64 v[20:21], v[175:176], s[22:23], -v[212:213]
	v_mul_f64_e32 v[212:213], s[50:51], v[165:166]
	v_fma_f64 v[112:113], v[128:129], s[42:43], v[112:113]
	v_add_f64_e32 v[80:81], v[82:83], v[80:81]
	v_fma_f64 v[82:83], v[130:131], s[42:43], v[114:115]
	v_add_f64_e32 v[20:21], v[20:21], v[124:125]
	v_mul_f64_e32 v[124:125], s[26:27], v[145:146]
	v_fma_f64 v[114:115], v[130:131], s[42:43], -v[114:115]
	s_delay_alu instid0(VALU_DEP_4) | instskip(SKIP_1) | instid1(VALU_DEP_1)
	v_add_f64_e32 v[82:83], v[82:83], v[120:121]
	v_mul_f64_e32 v[120:121], s[26:27], v[141:142]
	v_fma_f64 v[84:85], v[133:134], s[22:23], -v[120:121]
	v_fma_f64 v[120:121], v[133:134], s[22:23], v[120:121]
	s_delay_alu instid0(VALU_DEP_2) | instskip(SKIP_1) | instid1(VALU_DEP_1)
	v_add_f64_e32 v[80:81], v[84:85], v[80:81]
	v_fma_f64 v[84:85], v[135:136], s[22:23], v[124:125]
	v_add_f64_e32 v[82:83], v[84:85], v[82:83]
	v_fma_f64 v[84:85], v[137:138], s[2:3], -v[126:127]
	s_delay_alu instid0(VALU_DEP_1) | instskip(SKIP_1) | instid1(VALU_DEP_1)
	v_add_f64_e32 v[80:81], v[84:85], v[80:81]
	v_fma_f64 v[84:85], v[143:144], s[2:3], v[185:186]
	v_add_f64_e32 v[82:83], v[84:85], v[82:83]
	v_fma_f64 v[84:85], v[147:148], s[16:17], -v[212:213]
	s_delay_alu instid0(VALU_DEP_1) | instskip(SKIP_1) | instid1(VALU_DEP_1)
	;; [unrolled: 5-line block ×5, first 2 shown]
	v_add_f64_e32 v[82:83], v[82:83], v[80:81]
	v_fma_f64 v[80:81], v[175:176], s[10:11], v[228:229]
	v_add_f64_e32 v[80:81], v[80:81], v[84:85]
	v_fma_f64 v[84:85], v[128:129], s[22:23], -v[102:103]
	v_fma_f64 v[102:103], v[128:129], s[22:23], v[102:103]
	s_delay_alu instid0(VALU_DEP_2) | instskip(SKIP_1) | instid1(VALU_DEP_3)
	v_add_f64_e32 v[84:85], v[84:85], v[200:201]
	v_mul_f64_e32 v[200:201], s[56:57], v[149:150]
	v_add_f64_e32 v[102:103], v[102:103], v[191:192]
	s_delay_alu instid0(VALU_DEP_3) | instskip(SKIP_1) | instid1(VALU_DEP_3)
	v_add_f64_e32 v[84:85], v[88:89], v[84:85]
	v_fma_f64 v[88:89], v[135:136], s[2:3], v[110:111]
	v_add_f64_e32 v[100:101], v[100:101], v[102:103]
	v_fma_f64 v[102:103], v[135:136], s[2:3], -v[110:111]
	v_fma_f64 v[110:111], v[175:176], s[16:17], -v[248:249]
	s_delay_alu instid0(VALU_DEP_4) | instskip(SKIP_1) | instid1(VALU_DEP_4)
	v_add_f64_e32 v[86:87], v[88:89], v[86:87]
	v_fma_f64 v[88:89], v[137:138], s[34:35], -v[200:201]
	v_add_f64_e32 v[102:103], v[102:103], v[108:109]
	v_fma_f64 v[108:109], v[137:138], s[34:35], v[200:201]
	s_delay_alu instid0(VALU_DEP_3) | instskip(SKIP_1) | instid1(VALU_DEP_3)
	v_add_f64_e32 v[84:85], v[88:89], v[84:85]
	v_fma_f64 v[88:89], v[143:144], s[34:35], v[230:231]
	v_add_f64_e32 v[100:101], v[108:109], v[100:101]
	v_fma_f64 v[108:109], v[143:144], s[34:35], -v[230:231]
	s_delay_alu instid0(VALU_DEP_3) | instskip(SKIP_1) | instid1(VALU_DEP_3)
	v_add_f64_e32 v[86:87], v[88:89], v[86:87]
	v_fma_f64 v[88:89], v[147:148], s[20:21], -v[232:233]
	v_add_f64_e32 v[102:103], v[108:109], v[102:103]
	v_fma_f64 v[108:109], v[147:148], s[20:21], v[232:233]
	s_delay_alu instid0(VALU_DEP_3) | instskip(SKIP_1) | instid1(VALU_DEP_3)
	v_add_f64_e32 v[84:85], v[88:89], v[84:85]
	v_fma_f64 v[88:89], v[151:152], s[20:21], v[236:237]
	v_add_f64_e32 v[100:101], v[108:109], v[100:101]
	v_fma_f64 v[108:109], v[151:152], s[20:21], -v[236:237]
	s_delay_alu instid0(VALU_DEP_3) | instskip(SKIP_1) | instid1(VALU_DEP_3)
	;; [unrolled: 10-line block ×4, first 2 shown]
	v_add_f64_e32 v[88:89], v[88:89], v[86:87]
	v_fma_f64 v[86:87], v[171:172], s[16:17], -v[246:247]
	v_add_f64_e32 v[108:109], v[108:109], v[102:103]
	v_fma_f64 v[102:103], v[171:172], s[16:17], v[246:247]
	s_delay_alu instid0(VALU_DEP_3) | instskip(SKIP_1) | instid1(VALU_DEP_3)
	v_add_f64_e32 v[86:87], v[86:87], v[84:85]
	v_fma_f64 v[84:85], v[175:176], s[16:17], v[248:249]
	v_add_f64_e32 v[102:103], v[102:103], v[100:101]
	v_add_f64_e32 v[100:101], v[110:111], v[108:109]
	s_delay_alu instid0(VALU_DEP_3) | instskip(SKIP_2) | instid1(VALU_DEP_2)
	v_add_f64_e32 v[84:85], v[84:85], v[88:89]
	v_fma_f64 v[88:89], v[128:129], s[2:3], -v[92:93]
	v_fma_f64 v[92:93], v[128:129], s[2:3], v[92:93]
	v_add_f64_e32 v[88:89], v[88:89], v[189:190]
	v_mul_f64_e32 v[189:190], s[8:9], v[139:140]
	s_delay_alu instid0(VALU_DEP_3) | instskip(NEXT) | instid1(VALU_DEP_2)
	v_add_f64_e32 v[92:93], v[92:93], v[187:188]
	v_fma_f64 v[90:91], v[130:131], s[2:3], v[189:190]
	v_fma_f64 v[187:188], v[130:131], s[2:3], -v[189:190]
	s_delay_alu instid0(VALU_DEP_2) | instskip(SKIP_1) | instid1(VALU_DEP_3)
	v_add_f64_e32 v[90:91], v[90:91], v[94:95]
	v_mul_f64_e32 v[94:95], s[56:57], v[141:142]
	v_add_f64_e32 v[116:117], v[187:188], v[116:117]
	s_delay_alu instid0(VALU_DEP_2) | instskip(SKIP_1) | instid1(VALU_DEP_2)
	v_fma_f64 v[250:251], v[133:134], s[34:35], -v[94:95]
	v_fma_f64 v[94:95], v[133:134], s[34:35], v[94:95]
	v_add_f64_e32 v[88:89], v[250:251], v[88:89]
	v_mul_f64_e32 v[250:251], s[56:57], v[145:146]
	s_delay_alu instid0(VALU_DEP_3) | instskip(NEXT) | instid1(VALU_DEP_2)
	v_add_f64_e32 v[92:93], v[94:95], v[92:93]
	v_fma_f64 v[252:253], v[135:136], s[34:35], v[250:251]
	v_fma_f64 v[94:95], v[135:136], s[34:35], -v[250:251]
	s_delay_alu instid0(VALU_DEP_2) | instskip(SKIP_1) | instid1(VALU_DEP_3)
	v_add_f64_e32 v[90:91], v[252:253], v[90:91]
	v_mul_f64_e32 v[252:253], s[24:25], v[149:150]
	v_add_f64_e32 v[94:95], v[94:95], v[116:117]
	v_dual_mov_b32 v150, v146 :: v_dual_mov_b32 v149, v145
	v_mov_b32_e32 v145, v199
	v_dual_mov_b32 v199, v132 :: v_dual_mov_b32 v146, v255
	v_mov_b32_e32 v132, v235
	v_mul_f64_e32 v[254:255], s[36:37], v[183:184]
	v_fma_f64 v[226:227], v[137:138], s[10:11], -v[252:253]
	v_fma_f64 v[116:117], v[137:138], s[10:11], v[252:253]
	s_delay_alu instid0(VALU_DEP_2) | instskip(SKIP_1) | instid1(VALU_DEP_3)
	v_add_f64_e32 v[88:89], v[226:227], v[88:89]
	v_mul_f64_e32 v[226:227], s[24:25], v[153:154]
	v_add_f64_e32 v[92:93], v[116:117], v[92:93]
	v_mov_b32_e32 v153, v198
	s_delay_alu instid0(VALU_DEP_3) | instskip(SKIP_1) | instid1(VALU_DEP_2)
	v_fma_f64 v[195:196], v[143:144], s[10:11], v[226:227]
	v_fma_f64 v[116:117], v[143:144], s[10:11], -v[226:227]
	v_add_f64_e32 v[90:91], v[195:196], v[90:91]
	v_mul_f64_e32 v[195:196], s[46:47], v[165:166]
	s_delay_alu instid0(VALU_DEP_3) | instskip(NEXT) | instid1(VALU_DEP_2)
	v_add_f64_e32 v[94:95], v[116:117], v[94:95]
	v_fma_f64 v[197:198], v[147:148], s[28:29], -v[195:196]
	v_fma_f64 v[116:117], v[147:148], s[28:29], v[195:196]
	v_dual_mov_b32 v196, v2 :: v_dual_mov_b32 v195, v1
	scratch_load_b64 v[1:2], off, off offset:88 th:TH_LOAD_LU ; 8-byte Folded Reload
	v_add_f64_e32 v[88:89], v[197:198], v[88:89]
	v_mul_f64_e32 v[197:198], s[46:47], v[161:162]
	v_add_f64_e32 v[92:93], v[116:117], v[92:93]
	s_delay_alu instid0(VALU_DEP_2) | instskip(SKIP_2) | instid1(VALU_DEP_3)
	v_fma_f64 v[234:235], v[151:152], s[28:29], v[197:198]
	v_fma_f64 v[116:117], v[151:152], s[28:29], -v[197:198]
	v_dual_mov_b32 v198, v153 :: v_dual_mov_b32 v197, v3
	v_add_f64_e32 v[90:91], v[234:235], v[90:91]
	v_mul_f64_e32 v[234:235], s[18:19], v[173:174]
	s_delay_alu instid0(VALU_DEP_4) | instskip(SKIP_3) | instid1(VALU_DEP_2)
	v_add_f64_e32 v[94:95], v[116:117], v[94:95]
	v_dual_mov_b32 v174, v162 :: v_dual_mov_b32 v173, v161
	v_dual_mov_b32 v162, v140 :: v_dual_mov_b32 v161, v139
	v_mul_f64_e32 v[139:140], s[36:37], v[181:182]
	v_mul_f64_e32 v[118:119], s[30:31], v[161:162]
	v_fma_f64 v[210:211], v[155:156], s[16:17], -v[234:235]
	v_fma_f64 v[116:117], v[155:156], s[16:17], v[234:235]
	v_dual_mov_b32 v235, v132 :: v_dual_mov_b32 v132, v199
	v_mov_b32_e32 v199, v145
	v_fma_f64 v[110:111], v[130:131], s[20:21], v[118:119]
	v_fma_f64 v[118:119], v[130:131], s[20:21], -v[118:119]
	v_add_f64_e32 v[88:89], v[210:211], v[88:89]
	v_mul_f64_e32 v[210:211], s[18:19], v[169:170]
	v_add_f64_e32 v[92:93], v[116:117], v[92:93]
	v_add_f64_e32 v[110:111], v[110:111], v[122:123]
	v_mul_f64_e32 v[122:123], s[46:47], v[141:142]
	s_delay_alu instid0(VALU_DEP_4) | instskip(SKIP_1) | instid1(VALU_DEP_2)
	v_fma_f64 v[208:209], v[159:160], s[16:17], v[210:211]
	v_fma_f64 v[116:117], v[159:160], s[16:17], -v[210:211]
	v_add_f64_e32 v[90:91], v[208:209], v[90:91]
	v_mul_f64_e32 v[208:209], s[48:49], v[6:7]
	s_delay_alu instid0(VALU_DEP_3) | instskip(NEXT) | instid1(VALU_DEP_2)
	v_add_f64_e32 v[94:95], v[116:117], v[94:95]
	v_fma_f64 v[202:203], v[163:164], s[22:23], -v[208:209]
	v_fma_f64 v[116:117], v[163:164], s[22:23], v[208:209]
	s_wait_loadcnt 0x0
	v_add_f64_e32 v[112:113], v[112:113], v[1:2]
	scratch_load_b64 v[1:2], off, off offset:96 th:TH_LOAD_LU ; 8-byte Folded Reload
	v_add_f64_e32 v[88:89], v[202:203], v[88:89]
	v_mul_f64_e32 v[202:203], s[48:49], v[177:178]
	v_add_f64_e32 v[92:93], v[116:117], v[92:93]
	v_add_f64_e32 v[112:113], v[120:121], v[112:113]
	v_fma_f64 v[120:121], v[135:136], s[22:23], -v[124:125]
	v_fma_f64 v[124:125], v[175:176], s[10:11], -v[228:229]
	v_fma_f64 v[204:205], v[167:168], s[22:23], v[202:203]
	v_fma_f64 v[116:117], v[167:168], s[22:23], -v[202:203]
	s_delay_alu instid0(VALU_DEP_2) | instskip(SKIP_1) | instid1(VALU_DEP_3)
	v_add_f64_e32 v[204:205], v[204:205], v[90:91]
	v_fma_f64 v[90:91], v[171:172], s[20:21], -v[254:255]
	v_add_f64_e32 v[116:117], v[116:117], v[94:95]
	v_fma_f64 v[94:95], v[171:172], s[20:21], v[254:255]
	v_mov_b32_e32 v255, v146
	s_delay_alu instid0(VALU_DEP_4) | instskip(SKIP_3) | instid1(VALU_DEP_3)
	v_add_f64_e32 v[90:91], v[90:91], v[88:89]
	v_fma_f64 v[88:89], v[175:176], s[20:21], v[139:140]
	v_fma_f64 v[139:140], v[175:176], s[20:21], -v[139:140]
	v_add_f64_e32 v[94:95], v[94:95], v[92:93]
	v_add_f64_e32 v[88:89], v[88:89], v[204:205]
	s_delay_alu instid0(VALU_DEP_3) | instskip(SKIP_2) | instid1(VALU_DEP_2)
	v_add_f64_e32 v[92:93], v[139:140], v[116:117]
	v_mul_f64_e32 v[116:117], s[30:31], v[157:158]
	v_fma_f64 v[139:140], v[133:134], s[28:29], -v[122:123]
	v_fma_f64 v[108:109], v[128:129], s[20:21], -v[116:117]
	v_fma_f64 v[116:117], v[128:129], s[20:21], v[116:117]
	s_delay_alu instid0(VALU_DEP_2) | instskip(NEXT) | instid1(VALU_DEP_1)
	v_add_f64_e32 v[108:109], v[108:109], v[206:207]
	v_add_f64_e32 v[108:109], v[139:140], v[108:109]
	v_mul_f64_e32 v[139:140], s[46:47], v[149:150]
	s_wait_loadcnt 0x0
	v_add_f64_e32 v[114:115], v[114:115], v[1:2]
	scratch_load_b64 v[1:2], off, off offset:64 th:TH_LOAD_LU ; 8-byte Folded Reload
	v_fma_f64 v[141:142], v[135:136], s[28:29], v[139:140]
	v_add_f64_e32 v[114:115], v[120:121], v[114:115]
	v_fma_f64 v[120:121], v[137:138], s[2:3], v[126:127]
	s_delay_alu instid0(VALU_DEP_3) | instskip(SKIP_2) | instid1(VALU_DEP_4)
	v_add_f64_e32 v[110:111], v[141:142], v[110:111]
	v_mul_f64_e32 v[141:142], s[52:53], v[179:180]
	v_mul_f64_e32 v[179:180], s[8:9], v[181:182]
	v_add_f64_e32 v[112:113], v[120:121], v[112:113]
	v_fma_f64 v[120:121], v[143:144], s[2:3], -v[185:186]
	s_delay_alu instid0(VALU_DEP_4) | instskip(NEXT) | instid1(VALU_DEP_2)
	v_fma_f64 v[145:146], v[137:138], s[42:43], -v[141:142]
	v_add_f64_e32 v[114:115], v[120:121], v[114:115]
	v_fma_f64 v[120:121], v[147:148], s[16:17], v[212:213]
	s_delay_alu instid0(VALU_DEP_3) | instskip(SKIP_1) | instid1(VALU_DEP_3)
	v_add_f64_e32 v[108:109], v[145:146], v[108:109]
	v_mul_f64_e32 v[145:146], s[52:53], v[4:5]
	v_add_f64_e32 v[112:113], v[120:121], v[112:113]
	v_fma_f64 v[120:121], v[151:152], s[16:17], -v[214:215]
	s_delay_alu instid0(VALU_DEP_3) | instskip(NEXT) | instid1(VALU_DEP_2)
	v_fma_f64 v[149:150], v[143:144], s[42:43], v[145:146]
	v_add_f64_e32 v[114:115], v[120:121], v[114:115]
	v_fma_f64 v[120:121], v[155:156], s[34:35], v[216:217]
	s_delay_alu instid0(VALU_DEP_3) | instskip(SKIP_1) | instid1(VALU_DEP_3)
	v_add_f64_e32 v[110:111], v[149:150], v[110:111]
	v_mul_f64_e32 v[149:150], s[44:45], v[165:166]
	v_add_f64_e32 v[112:113], v[120:121], v[112:113]
	v_fma_f64 v[120:121], v[159:160], s[34:35], -v[218:219]
	s_delay_alu instid0(VALU_DEP_3) | instskip(NEXT) | instid1(VALU_DEP_2)
	v_fma_f64 v[153:154], v[147:148], s[34:35], -v[149:150]
	v_add_f64_e32 v[114:115], v[120:121], v[114:115]
	v_fma_f64 v[120:121], v[163:164], s[28:29], v[220:221]
	v_mov_b32_e32 v220, v12
	s_delay_alu instid0(VALU_DEP_4) | instskip(SKIP_1) | instid1(VALU_DEP_4)
	v_add_f64_e32 v[108:109], v[153:154], v[108:109]
	v_mul_f64_e32 v[153:154], s[44:45], v[173:174]
	v_add_f64_e32 v[112:113], v[120:121], v[112:113]
	v_fma_f64 v[120:121], v[167:168], s[28:29], -v[222:223]
	s_delay_alu instid0(VALU_DEP_3)
	v_fma_f64 v[157:158], v[151:152], s[34:35], v[153:154]
	s_wait_loadcnt 0x0
	v_add_f64_e32 v[116:117], v[116:117], v[1:2]
	scratch_load_b64 v[1:2], off, off offset:56 th:TH_LOAD_LU ; 8-byte Folded Reload
	v_add_f64_e32 v[120:121], v[120:121], v[114:115]
	v_fma_f64 v[114:115], v[171:172], s[10:11], v[224:225]
	v_add_f64_e32 v[110:111], v[157:158], v[110:111]
	v_mul_f64_e32 v[157:158], s[26:27], v[32:33]
	v_dual_mov_b32 v35, v11 :: v_dual_mov_b32 v32, v8
	v_dual_mov_b32 v33, v9 :: v_dual_mov_b32 v34, v10
	v_add_f64_e32 v[114:115], v[114:115], v[112:113]
	v_add_f64_e32 v[112:113], v[124:125], v[120:121]
	v_fma_f64 v[120:121], v[133:134], s[28:29], v[122:123]
	v_fma_f64 v[122:123], v[135:136], s[28:29], -v[139:140]
	v_fma_f64 v[124:125], v[137:138], s[42:43], v[141:142]
	v_fma_f64 v[161:162], v[155:156], s[22:23], -v[157:158]
	s_delay_alu instid0(VALU_DEP_4) | instskip(SKIP_1) | instid1(VALU_DEP_3)
	v_add_f64_e32 v[116:117], v[120:121], v[116:117]
	v_fma_f64 v[120:121], v[143:144], s[42:43], -v[145:146]
	v_add_f64_e32 v[108:109], v[161:162], v[108:109]
	v_mul_f64_e32 v[161:162], s[26:27], v[169:170]
	s_delay_alu instid0(VALU_DEP_4) | instskip(SKIP_1) | instid1(VALU_DEP_3)
	v_add_f64_e32 v[116:117], v[124:125], v[116:117]
	v_fma_f64 v[124:125], v[151:152], s[34:35], -v[153:154]
	v_fma_f64 v[165:166], v[159:160], s[22:23], v[161:162]
	s_delay_alu instid0(VALU_DEP_1) | instskip(SKIP_1) | instid1(VALU_DEP_1)
	v_add_f64_e32 v[110:111], v[165:166], v[110:111]
	v_mul_f64_e32 v[165:166], s[18:19], v[6:7]
	v_fma_f64 v[169:170], v[163:164], s[16:17], -v[165:166]
	s_delay_alu instid0(VALU_DEP_1) | instskip(SKIP_2) | instid1(VALU_DEP_2)
	v_add_f64_e32 v[108:109], v[169:170], v[108:109]
	v_mul_f64_e32 v[169:170], s[18:19], v[177:178]
	v_mul_f64_e32 v[177:178], s[8:9], v[183:184]
	v_fma_f64 v[173:174], v[167:168], s[16:17], v[169:170]
	s_wait_loadcnt 0x0
	v_add_f64_e32 v[118:119], v[118:119], v[1:2]
	s_delay_alu instid0(VALU_DEP_2) | instskip(NEXT) | instid1(VALU_DEP_4)
	v_add_f64_e32 v[173:174], v[173:174], v[110:111]
	v_fma_f64 v[110:111], v[171:172], s[2:3], -v[177:178]
	s_delay_alu instid0(VALU_DEP_3) | instskip(SKIP_1) | instid1(VALU_DEP_3)
	v_add_f64_e32 v[118:119], v[122:123], v[118:119]
	v_fma_f64 v[122:123], v[147:148], s[34:35], v[149:150]
	v_add_f64_e32 v[110:111], v[110:111], v[108:109]
	v_fma_f64 v[108:109], v[175:176], s[2:3], v[179:180]
	s_delay_alu instid0(VALU_DEP_4)
	v_add_f64_e32 v[118:119], v[120:121], v[118:119]
	v_fma_f64 v[120:121], v[155:156], s[22:23], v[157:158]
	v_add_f64_e32 v[116:117], v[122:123], v[116:117]
	v_fma_f64 v[122:123], v[159:160], s[22:23], -v[161:162]
	v_add_f64_e32 v[108:109], v[108:109], v[173:174]
	v_add_f64_e32 v[118:119], v[124:125], v[118:119]
	v_fma_f64 v[124:125], v[163:164], s[16:17], v[165:166]
	v_add_f64_e32 v[116:117], v[120:121], v[116:117]
	v_fma_f64 v[120:121], v[167:168], s[16:17], -v[169:170]
	s_delay_alu instid0(VALU_DEP_4) | instskip(SKIP_1) | instid1(VALU_DEP_4)
	v_add_f64_e32 v[118:119], v[122:123], v[118:119]
	v_fma_f64 v[122:123], v[171:172], s[2:3], v[177:178]
	v_add_f64_e32 v[116:117], v[124:125], v[116:117]
	v_fma_f64 v[124:125], v[175:176], s[2:3], -v[179:180]
	s_delay_alu instid0(VALU_DEP_4) | instskip(NEXT) | instid1(VALU_DEP_3)
	v_add_f64_e32 v[120:121], v[120:121], v[118:119]
	v_add_f64_e32 v[118:119], v[122:123], v[116:117]
	s_delay_alu instid0(VALU_DEP_2) | instskip(SKIP_1) | instid1(VALU_DEP_1)
	v_add_f64_e32 v[116:117], v[124:125], v[120:121]
	v_and_b32_e32 v120, 0xffff, v0
	v_lshl_add_u32 v120, v120, 4, v255
	ds_store_b128 v120, v[80:83] offset:32
	ds_store_b128 v120, v[84:87] offset:48
	;; [unrolled: 1-line block ×5, first 2 shown]
	scratch_load_b128 v[0:3], off, off offset:40 th:TH_LOAD_LU ; 16-byte Folded Reload
	s_wait_loadcnt 0x0
	ds_store_b128 v120, v[0:3] offset:112
	scratch_load_b128 v[0:3], off, off offset:24 th:TH_LOAD_LU ; 16-byte Folded Reload
	s_wait_loadcnt 0x0
	ds_store_b128 v120, v[0:3] offset:160
	ds_store_b128 v120, v[96:99] offset:128
	;; [unrolled: 1-line block ×3, first 2 shown]
	scratch_load_b128 v[0:3], off, off offset:72 th:TH_LOAD_LU ; 16-byte Folded Reload
	s_wait_loadcnt 0x0
	ds_store_b128 v120, v[0:3] offset:176
	ds_store_b128 v120, v[20:23] offset:192
	;; [unrolled: 1-line block ×4, first 2 shown]
	scratch_load_b128 v[0:3], off, off offset:8 th:TH_LOAD_LU ; 16-byte Folded Reload
	s_wait_loadcnt 0x0
	ds_store_b128 v120, v[0:3]
	ds_store_b128 v120, v[100:103] offset:224
	ds_store_b128 v120, v[112:115] offset:240
	;; [unrolled: 1-line block ×3, first 2 shown]
.LBB0_17:
	s_wait_alu 0xfffe
	s_or_b32 exec_lo, exec_lo, s1
	global_wb scope:SCOPE_SE
	s_wait_storecnt_dscnt 0x0
	s_barrier_signal -1
	s_barrier_wait -1
	global_inv scope:SCOPE_SE
	ds_load_b128 v[4:7], v193
	ds_load_b128 v[8:11], v193 offset:544
	ds_load_b128 v[20:23], v193 offset:2448
	;; [unrolled: 1-line block ×7, first 2 shown]
	s_and_saveexec_b32 s1, s0
	s_cbranch_execz .LBB0_19
; %bb.18:
	ds_load_b128 v[96:99], v193 offset:2176
	ds_load_b128 v[104:107], v193 offset:4624
.LBB0_19:
	s_wait_alu 0xfffe
	s_or_b32 exec_lo, exec_lo, s1
	s_wait_dscnt 0x5
	v_mul_f64_e32 v[84:85], v[38:39], v[22:23]
	v_mul_f64_e32 v[38:39], v[38:39], v[20:21]
	s_wait_dscnt 0x4
	v_mul_f64_e32 v[86:87], v[42:43], v[18:19]
	v_mul_f64_e32 v[42:43], v[42:43], v[16:17]
	;; [unrolled: 3-line block ×4, first 2 shown]
	global_wb scope:SCOPE_SE
	s_barrier_signal -1
	s_barrier_wait -1
	global_inv scope:SCOPE_SE
	v_fma_f64 v[20:21], v[36:37], v[20:21], v[84:85]
	v_fma_f64 v[22:23], v[36:37], v[22:23], -v[38:39]
	v_fma_f64 v[36:37], v[40:41], v[16:17], v[86:87]
	v_fma_f64 v[38:39], v[40:41], v[18:19], -v[42:43]
	v_fma_f64 v[40:41], v[32:33], v[80:81], v[88:89]
	v_fma_f64 v[32:33], v[32:33], v[82:83], -v[34:35]
	v_fma_f64 v[34:35], v[44:45], v[24:25], v[90:91]
	v_fma_f64 v[42:43], v[44:45], v[26:27], -v[46:47]
	v_add_f64_e64 v[16:17], v[4:5], -v[20:21]
	v_add_f64_e64 v[18:19], v[6:7], -v[22:23]
	;; [unrolled: 1-line block ×8, first 2 shown]
	v_fma_f64 v[4:5], v[4:5], 2.0, -v[16:17]
	v_fma_f64 v[6:7], v[6:7], 2.0, -v[18:19]
	;; [unrolled: 1-line block ×8, first 2 shown]
	ds_store_b128 v220, v[4:7]
	ds_store_b128 v220, v[16:19] offset:272
	ds_store_b128 v198, v[8:11]
	ds_store_b128 v198, v[20:23] offset:272
	;; [unrolled: 2-line block ×4, first 2 shown]
	s_and_saveexec_b32 s1, s0
	s_cbranch_execz .LBB0_21
; %bb.20:
	v_mul_f64_e32 v[0:1], v[30:31], v[104:105]
	v_mul_f64_e32 v[2:3], v[30:31], v[106:107]
	v_lshl_add_u32 v8, v195, 4, v255
	s_delay_alu instid0(VALU_DEP_3) | instskip(NEXT) | instid1(VALU_DEP_3)
	v_fma_f64 v[0:1], v[28:29], v[106:107], -v[0:1]
	v_fma_f64 v[4:5], v[28:29], v[104:105], v[2:3]
	s_delay_alu instid0(VALU_DEP_2) | instskip(NEXT) | instid1(VALU_DEP_2)
	v_add_f64_e64 v[2:3], v[98:99], -v[0:1]
	v_add_f64_e64 v[0:1], v[96:97], -v[4:5]
	s_delay_alu instid0(VALU_DEP_2) | instskip(NEXT) | instid1(VALU_DEP_2)
	v_fma_f64 v[6:7], v[98:99], 2.0, -v[2:3]
	v_fma_f64 v[4:5], v[96:97], 2.0, -v[0:1]
	ds_store_b128 v8, v[4:7] offset:4352
	ds_store_b128 v8, v[0:3] offset:4624
.LBB0_21:
	s_wait_alu 0xfffe
	s_or_b32 exec_lo, exec_lo, s1
	global_wb scope:SCOPE_SE
	s_wait_dscnt 0x0
	s_barrier_signal -1
	s_barrier_wait -1
	global_inv scope:SCOPE_SE
	ds_load_b128 v[0:3], v193 offset:544
	ds_load_b128 v[4:7], v193 offset:4352
	ds_load_b128 v[8:11], v193 offset:1088
	ds_load_b128 v[12:15], v193 offset:2176
	ds_load_b128 v[16:19], v193 offset:2720
	ds_load_b128 v[20:23], v193 offset:3808
	ds_load_b128 v[24:27], v193 offset:1632
	s_mov_b32 s0, 0x8c811c17
	s_mov_b32 s8, 0xa2cf5039
	;; [unrolled: 1-line block ×8, first 2 shown]
	s_wait_dscnt 0x6
	v_mul_f64_e32 v[28:29], v[58:59], v[2:3]
	v_mul_f64_e32 v[30:31], v[58:59], v[0:1]
	s_wait_dscnt 0x5
	v_mul_f64_e32 v[32:33], v[70:71], v[6:7]
	v_mul_f64_e32 v[34:35], v[70:71], v[4:5]
	;; [unrolled: 3-line block ×3, first 2 shown]
	s_wait_dscnt 0x3
	v_mul_f64_e32 v[40:41], v[62:63], v[14:15]
	s_wait_dscnt 0x2
	v_mul_f64_e32 v[42:43], v[78:79], v[18:19]
	v_mul_f64_e32 v[44:45], v[62:63], v[12:13]
	;; [unrolled: 1-line block ×3, first 2 shown]
	s_wait_dscnt 0x1
	v_mul_f64_e32 v[58:59], v[74:75], v[22:23]
	v_mul_f64_e32 v[62:63], v[74:75], v[20:21]
	v_fma_f64 v[28:29], v[56:57], v[0:1], v[28:29]
	v_fma_f64 v[30:31], v[56:57], v[2:3], -v[30:31]
	v_fma_f64 v[4:5], v[68:69], v[4:5], v[32:33]
	v_fma_f64 v[6:7], v[68:69], v[6:7], -v[34:35]
	;; [unrolled: 2-line block ×3, first 2 shown]
	v_fma_f64 v[12:13], v[60:61], v[12:13], v[40:41]
	v_fma_f64 v[16:17], v[76:77], v[16:17], v[42:43]
	v_fma_f64 v[14:15], v[60:61], v[14:15], -v[44:45]
	v_fma_f64 v[18:19], v[76:77], v[18:19], -v[46:47]
	v_fma_f64 v[20:21], v[72:73], v[20:21], v[58:59]
	v_fma_f64 v[22:23], v[72:73], v[22:23], -v[62:63]
	ds_load_b128 v[0:3], v193 offset:3264
	s_wait_dscnt 0x1
	v_mul_f64_e32 v[32:33], v[54:55], v[26:27]
	v_mul_f64_e32 v[34:35], v[54:55], v[24:25]
	v_add_f64_e64 v[40:41], v[28:29], -v[4:5]
	v_add_f64_e64 v[42:43], v[30:31], -v[6:7]
	v_add_f64_e32 v[28:29], v[28:29], v[4:5]
	v_add_f64_e32 v[30:31], v[30:31], v[6:7]
	ds_load_b128 v[4:7], v193
	s_wait_dscnt 0x1
	v_mul_f64_e32 v[36:37], v[50:51], v[2:3]
	v_mul_f64_e32 v[38:39], v[50:51], v[0:1]
	v_add_f64_e32 v[44:45], v[12:13], v[16:17]
	v_add_f64_e64 v[46:47], v[12:13], -v[16:17]
	v_add_f64_e64 v[50:51], v[14:15], -v[18:19]
	v_add_f64_e32 v[54:55], v[8:9], v[20:21]
	v_add_f64_e32 v[56:57], v[10:11], v[22:23]
	;; [unrolled: 1-line block ×3, first 2 shown]
	v_fma_f64 v[24:25], v[52:53], v[24:25], v[32:33]
	v_fma_f64 v[26:27], v[52:53], v[26:27], -v[34:35]
	v_add_f64_e64 v[8:9], v[8:9], -v[20:21]
	v_add_f64_e64 v[10:11], v[10:11], -v[22:23]
	s_wait_alu 0xfffe
	v_mul_f64_e32 v[20:21], s[2:3], v[40:41]
	v_mul_f64_e32 v[22:23], s[2:3], v[42:43]
	s_wait_dscnt 0x0
	v_fma_f64 v[32:33], v[28:29], s[8:9], v[4:5]
	v_fma_f64 v[34:35], v[30:31], s[8:9], v[6:7]
	s_mov_b32 s3, 0xbfe491b7
	v_fma_f64 v[0:1], v[48:49], v[0:1], v[36:37]
	v_fma_f64 v[2:3], v[48:49], v[2:3], -v[38:39]
	v_fma_f64 v[36:37], v[44:45], s[8:9], v[4:5]
	v_mul_f64_e32 v[38:39], s[0:1], v[46:47]
	v_mul_f64_e32 v[48:49], s[0:1], v[50:51]
	v_fma_f64 v[52:53], v[54:55], s[8:9], v[4:5]
	v_fma_f64 v[60:61], v[56:57], s[8:9], v[6:7]
	;; [unrolled: 1-line block ×3, first 2 shown]
	s_wait_alu 0xfffe
	v_mul_f64_e32 v[64:65], s[2:3], v[50:51]
	v_mul_f64_e32 v[66:67], s[2:3], v[46:47]
	v_add_f64_e32 v[72:73], v[54:55], v[28:29]
	v_add_f64_e32 v[74:75], v[56:57], v[30:31]
	s_mov_b32 s8, 0x7e0b738b
	s_mov_b32 s9, 0x3fc63a1a
	v_fma_f64 v[20:21], v[8:9], s[0:1], v[20:21]
	v_fma_f64 v[22:23], v[10:11], s[0:1], v[22:23]
	v_add_f64_e32 v[68:69], v[24:25], v[0:1]
	v_add_f64_e32 v[70:71], v[26:27], v[2:3]
	v_add_f64_e64 v[0:1], v[24:25], -v[0:1]
	v_add_f64_e64 v[2:3], v[26:27], -v[2:3]
	s_wait_alu 0xfffe
	v_fma_f64 v[24:25], v[54:55], s[8:9], v[32:33]
	v_fma_f64 v[26:27], v[56:57], s[8:9], v[34:35]
	v_fma_f64 v[32:33], v[28:29], s[8:9], v[36:37]
	v_fma_f64 v[34:35], v[8:9], s[2:3], -v[38:39]
	v_fma_f64 v[36:37], v[10:11], s[2:3], -v[48:49]
	v_fma_f64 v[38:39], v[44:45], s[8:9], v[52:53]
	v_fma_f64 v[48:49], v[58:59], s[8:9], v[60:61]
	;; [unrolled: 1-line block ×5, first 2 shown]
	v_add_f64_e32 v[80:81], v[44:45], v[72:73]
	v_add_f64_e32 v[82:83], v[58:59], v[74:75]
	s_mov_b32 s0, 0xe8584cab
	s_mov_b32 s1, 0x3febb67a
	;; [unrolled: 1-line block ×3, first 2 shown]
	s_wait_alu 0xfffe
	s_mov_b32 s2, s0
	v_add_f64_e32 v[64:65], v[46:47], v[40:41]
	v_add_f64_e32 v[66:67], v[50:51], v[42:43]
	s_mov_b32 s8, 0x748a0bf8
	s_mov_b32 s9, 0x3fd5e3a8
	v_add_f64_e32 v[72:73], v[68:69], v[72:73]
	v_add_f64_e32 v[74:75], v[70:71], v[74:75]
	v_fma_f64 v[20:21], v[0:1], s[0:1], v[20:21]
	v_fma_f64 v[22:23], v[2:3], s[0:1], v[22:23]
	v_fma_f64 v[24:25], v[68:69], -0.5, v[24:25]
	v_fma_f64 v[26:27], v[70:71], -0.5, v[26:27]
	;; [unrolled: 1-line block ×3, first 2 shown]
	v_fma_f64 v[34:35], v[0:1], s[0:1], v[34:35]
	v_fma_f64 v[36:37], v[2:3], s[0:1], v[36:37]
	v_fma_f64 v[38:39], v[68:69], -0.5, v[38:39]
	v_fma_f64 v[48:49], v[70:71], -0.5, v[48:49]
	v_add_f64_e32 v[76:77], v[4:5], v[68:69]
	v_add_f64_e32 v[78:79], v[6:7], v[70:71]
	v_fma_f64 v[52:53], v[70:71], -0.5, v[52:53]
	s_wait_alu 0xfffe
	v_fma_f64 v[2:3], v[2:3], s[2:3], v[60:61]
	v_fma_f64 v[0:1], v[0:1], s[2:3], v[62:63]
	v_add_f64_e64 v[60:61], v[64:65], -v[8:9]
	v_add_f64_e64 v[62:63], v[66:67], -v[10:11]
	v_add_f64_e32 v[12:13], v[12:13], v[72:73]
	v_add_f64_e32 v[14:15], v[14:15], v[74:75]
	v_fma_f64 v[46:47], v[46:47], s[8:9], v[20:21]
	v_fma_f64 v[50:51], v[50:51], s[8:9], v[22:23]
	v_fma_f64 v[20:21], v[44:45], s[10:11], v[24:25]
	v_fma_f64 v[22:23], v[58:59], s[10:11], v[26:27]
	v_fma_f64 v[24:25], v[54:55], s[10:11], v[32:33]
	v_fma_f64 v[26:27], v[40:41], s[8:9], v[34:35]
	v_fma_f64 v[32:33], v[42:43], s[8:9], v[36:37]
	v_fma_f64 v[28:29], v[28:29], s[10:11], v[38:39]
	v_fma_f64 v[30:31], v[30:31], s[10:11], v[48:49]
	v_fma_f64 v[64:65], v[80:81], -0.5, v[76:77]
	v_fma_f64 v[66:67], v[82:83], -0.5, v[78:79]
	v_fma_f64 v[34:35], v[56:57], s[10:11], v[52:53]
	v_fma_f64 v[36:37], v[10:11], s[8:9], v[2:3]
	;; [unrolled: 1-line block ×3, first 2 shown]
	v_mul_f64_e32 v[40:41], s[0:1], v[60:61]
	v_mul_f64_e32 v[42:43], s[0:1], v[62:63]
	v_add_f64_e32 v[44:45], v[16:17], v[12:13]
	v_add_f64_e32 v[48:49], v[18:19], v[14:15]
	v_add_f64_e64 v[8:9], v[20:21], -v[50:51]
	v_add_f64_e32 v[10:11], v[46:47], v[22:23]
	v_add_f64_e64 v[12:13], v[28:29], -v[32:33]
	v_add_f64_e32 v[14:15], v[26:27], v[30:31]
	v_fma_f64 v[0:1], v[62:63], s[2:3], v[64:65]
	v_fma_f64 v[2:3], v[60:61], s[0:1], v[66:67]
	s_and_b32 s0, exec_lo, vcc_lo
	v_add_f64_e64 v[16:17], v[24:25], -v[36:37]
	v_add_f64_e32 v[18:19], v[38:39], v[34:35]
	v_add_f64_e32 v[4:5], v[4:5], v[44:45]
	;; [unrolled: 1-line block ×3, first 2 shown]
	v_fma_f64 v[24:25], v[50:51], 2.0, v[8:9]
	v_fma_f64 v[28:29], v[32:33], 2.0, v[12:13]
	v_fma_f64 v[30:31], v[26:27], -2.0, v[14:15]
	v_fma_f64 v[26:27], v[46:47], -2.0, v[10:11]
	v_fma_f64 v[20:21], v[42:43], 2.0, v[0:1]
	v_fma_f64 v[22:23], v[40:41], -2.0, v[2:3]
	v_fma_f64 v[32:33], v[36:37], 2.0, v[16:17]
	v_fma_f64 v[34:35], v[38:39], -2.0, v[18:19]
	ds_store_b128 v194, v[4:7]
	ds_store_b128 v194, v[8:11] offset:544
	ds_store_b128 v194, v[16:19] offset:1088
	;; [unrolled: 1-line block ×8, first 2 shown]
	global_wb scope:SCOPE_SE
	s_wait_dscnt 0x0
	s_barrier_signal -1
	s_barrier_wait -1
	global_inv scope:SCOPE_SE
	scratch_load_b64 v[14:15], off, off     ; 8-byte Folded Reload
	s_wait_alu 0xfffe
	s_mov_b32 exec_lo, s0
	s_cbranch_execz .LBB0_23
; %bb.22:
	global_load_b128 v[0:3], v199, s[12:13]
	ds_load_b128 v[4:7], v194
	ds_load_b128 v[8:11], v194 offset:288
	s_mov_b32 s0, 0x1ac5701b
	s_mov_b32 s1, 0x3f6ac570
	s_mul_u64 s[2:3], s[4:5], 0x120
	s_wait_loadcnt_dscnt 0x1
	v_mul_f64_e32 v[12:13], v[6:7], v[2:3]
	v_mul_f64_e32 v[2:3], v[4:5], v[2:3]
	s_delay_alu instid0(VALU_DEP_2) | instskip(NEXT) | instid1(VALU_DEP_2)
	v_fma_f64 v[4:5], v[4:5], v[0:1], v[12:13]
	v_fma_f64 v[0:1], v[0:1], v[6:7], -v[2:3]
	v_mad_co_u64_u32 v[6:7], null, s6, v14, 0
	v_mad_co_u64_u32 v[12:13], null, s4, v132, 0
	s_wait_alu 0xfffe
	s_delay_alu instid0(VALU_DEP_4) | instskip(NEXT) | instid1(VALU_DEP_4)
	v_mul_f64_e32 v[2:3], s[0:1], v[4:5]
	v_mul_f64_e32 v[4:5], s[0:1], v[0:1]
	s_delay_alu instid0(VALU_DEP_3) | instskip(NEXT) | instid1(VALU_DEP_1)
	v_dual_mov_b32 v0, v7 :: v_dual_mov_b32 v1, v13
	v_mad_co_u64_u32 v[13:14], null, s7, v14, v[0:1]
	s_delay_alu instid0(VALU_DEP_1) | instskip(SKIP_1) | instid1(VALU_DEP_1)
	v_mov_b32_e32 v7, v13
	v_mad_co_u64_u32 v[0:1], null, s5, v132, v[1:2]
	v_mov_b32_e32 v13, v0
	s_delay_alu instid0(VALU_DEP_3) | instskip(NEXT) | instid1(VALU_DEP_2)
	v_lshlrev_b64_e32 v[0:1], 4, v[6:7]
	v_lshlrev_b64_e32 v[6:7], 4, v[12:13]
	s_delay_alu instid0(VALU_DEP_2) | instskip(NEXT) | instid1(VALU_DEP_3)
	v_add_co_u32 v0, vcc_lo, s14, v0
	v_add_co_ci_u32_e32 v1, vcc_lo, s15, v1, vcc_lo
	s_delay_alu instid0(VALU_DEP_2) | instskip(SKIP_1) | instid1(VALU_DEP_2)
	v_add_co_u32 v6, vcc_lo, v0, v6
	s_wait_alu 0xfffd
	v_add_co_ci_u32_e32 v7, vcc_lo, v1, v7, vcc_lo
	s_delay_alu instid0(VALU_DEP_2)
	v_add_co_u32 v14, vcc_lo, v6, s2
	global_store_b128 v[6:7], v[2:5], off
	global_load_b128 v[2:5], v199, s[12:13] offset:288
	s_wait_alu 0xfffd
	v_add_co_ci_u32_e32 v15, vcc_lo, s3, v7, vcc_lo
	s_wait_loadcnt_dscnt 0x0
	v_mul_f64_e32 v[12:13], v[10:11], v[4:5]
	v_mul_f64_e32 v[4:5], v[8:9], v[4:5]
	s_delay_alu instid0(VALU_DEP_2) | instskip(NEXT) | instid1(VALU_DEP_2)
	v_fma_f64 v[8:9], v[8:9], v[2:3], v[12:13]
	v_fma_f64 v[4:5], v[2:3], v[10:11], -v[4:5]
	s_delay_alu instid0(VALU_DEP_2) | instskip(NEXT) | instid1(VALU_DEP_2)
	v_mul_f64_e32 v[2:3], s[0:1], v[8:9]
	v_mul_f64_e32 v[4:5], s[0:1], v[4:5]
	global_store_b128 v[14:15], v[2:5], off
	global_load_b128 v[2:5], v199, s[12:13] offset:576
	ds_load_b128 v[6:9], v194 offset:576
	ds_load_b128 v[10:13], v194 offset:864
	s_wait_loadcnt_dscnt 0x1
	v_mul_f64_e32 v[16:17], v[8:9], v[4:5]
	v_mul_f64_e32 v[4:5], v[6:7], v[4:5]
	s_delay_alu instid0(VALU_DEP_2) | instskip(NEXT) | instid1(VALU_DEP_2)
	v_fma_f64 v[6:7], v[6:7], v[2:3], v[16:17]
	v_fma_f64 v[4:5], v[2:3], v[8:9], -v[4:5]
	s_delay_alu instid0(VALU_DEP_2) | instskip(NEXT) | instid1(VALU_DEP_2)
	v_mul_f64_e32 v[2:3], s[0:1], v[6:7]
	v_mul_f64_e32 v[4:5], s[0:1], v[4:5]
	v_add_co_u32 v6, vcc_lo, v14, s2
	s_wait_alu 0xfffd
	v_add_co_ci_u32_e32 v7, vcc_lo, s3, v15, vcc_lo
	s_delay_alu instid0(VALU_DEP_2) | instskip(SKIP_1) | instid1(VALU_DEP_2)
	v_add_co_u32 v14, vcc_lo, v6, s2
	s_wait_alu 0xfffd
	v_add_co_ci_u32_e32 v15, vcc_lo, s3, v7, vcc_lo
	global_store_b128 v[6:7], v[2:5], off
	global_load_b128 v[2:5], v199, s[12:13] offset:864
	s_wait_loadcnt_dscnt 0x0
	v_mul_f64_e32 v[8:9], v[12:13], v[4:5]
	v_mul_f64_e32 v[4:5], v[10:11], v[4:5]
	s_delay_alu instid0(VALU_DEP_2) | instskip(NEXT) | instid1(VALU_DEP_2)
	v_fma_f64 v[8:9], v[10:11], v[2:3], v[8:9]
	v_fma_f64 v[4:5], v[2:3], v[12:13], -v[4:5]
	s_delay_alu instid0(VALU_DEP_2) | instskip(NEXT) | instid1(VALU_DEP_2)
	v_mul_f64_e32 v[2:3], s[0:1], v[8:9]
	v_mul_f64_e32 v[4:5], s[0:1], v[4:5]
	global_store_b128 v[14:15], v[2:5], off
	global_load_b128 v[2:5], v199, s[12:13] offset:1152
	ds_load_b128 v[6:9], v194 offset:1152
	ds_load_b128 v[10:13], v194 offset:1440
	s_wait_loadcnt_dscnt 0x1
	v_mul_f64_e32 v[16:17], v[8:9], v[4:5]
	v_mul_f64_e32 v[4:5], v[6:7], v[4:5]
	s_delay_alu instid0(VALU_DEP_2) | instskip(NEXT) | instid1(VALU_DEP_2)
	v_fma_f64 v[6:7], v[6:7], v[2:3], v[16:17]
	v_fma_f64 v[4:5], v[2:3], v[8:9], -v[4:5]
	s_delay_alu instid0(VALU_DEP_2) | instskip(NEXT) | instid1(VALU_DEP_2)
	v_mul_f64_e32 v[2:3], s[0:1], v[6:7]
	v_mul_f64_e32 v[4:5], s[0:1], v[4:5]
	v_add_co_u32 v6, vcc_lo, v14, s2
	s_wait_alu 0xfffd
	v_add_co_ci_u32_e32 v7, vcc_lo, s3, v15, vcc_lo
	s_delay_alu instid0(VALU_DEP_2) | instskip(SKIP_1) | instid1(VALU_DEP_2)
	v_add_co_u32 v14, vcc_lo, v6, s2
	s_wait_alu 0xfffd
	v_add_co_ci_u32_e32 v15, vcc_lo, s3, v7, vcc_lo
	global_store_b128 v[6:7], v[2:5], off
	global_load_b128 v[2:5], v199, s[12:13] offset:1440
	;; [unrolled: 31-line block ×6, first 2 shown]
	s_wait_loadcnt_dscnt 0x0
	v_mul_f64_e32 v[8:9], v[12:13], v[4:5]
	v_mul_f64_e32 v[4:5], v[10:11], v[4:5]
	s_delay_alu instid0(VALU_DEP_2) | instskip(NEXT) | instid1(VALU_DEP_2)
	v_fma_f64 v[8:9], v[10:11], v[2:3], v[8:9]
	v_fma_f64 v[4:5], v[2:3], v[12:13], -v[4:5]
	s_delay_alu instid0(VALU_DEP_2) | instskip(NEXT) | instid1(VALU_DEP_2)
	v_mul_f64_e32 v[2:3], s[0:1], v[8:9]
	v_mul_f64_e32 v[4:5], s[0:1], v[4:5]
	global_store_b128 v[14:15], v[2:5], off
	global_load_b128 v[2:5], v199, s[12:13] offset:4032
	ds_load_b128 v[6:9], v194 offset:4032
	ds_load_b128 v[10:13], v194 offset:4320
	s_wait_loadcnt_dscnt 0x1
	v_mul_f64_e32 v[16:17], v[8:9], v[4:5]
	v_mul_f64_e32 v[4:5], v[6:7], v[4:5]
	s_delay_alu instid0(VALU_DEP_2) | instskip(NEXT) | instid1(VALU_DEP_2)
	v_fma_f64 v[6:7], v[6:7], v[2:3], v[16:17]
	v_fma_f64 v[4:5], v[2:3], v[8:9], -v[4:5]
	s_delay_alu instid0(VALU_DEP_2) | instskip(NEXT) | instid1(VALU_DEP_2)
	v_mul_f64_e32 v[2:3], s[0:1], v[6:7]
	v_mul_f64_e32 v[4:5], s[0:1], v[4:5]
	v_add_co_u32 v6, vcc_lo, v14, s2
	s_wait_alu 0xfffd
	v_add_co_ci_u32_e32 v7, vcc_lo, s3, v15, vcc_lo
	global_store_b128 v[6:7], v[2:5], off
	global_load_b128 v[2:5], v199, s[12:13] offset:4320
	v_add_co_u32 v6, vcc_lo, v6, s2
	s_wait_alu 0xfffd
	v_add_co_ci_u32_e32 v7, vcc_lo, s3, v7, vcc_lo
	s_wait_loadcnt_dscnt 0x0
	v_mul_f64_e32 v[8:9], v[12:13], v[4:5]
	v_mul_f64_e32 v[4:5], v[10:11], v[4:5]
	s_delay_alu instid0(VALU_DEP_2) | instskip(NEXT) | instid1(VALU_DEP_2)
	v_fma_f64 v[8:9], v[10:11], v[2:3], v[8:9]
	v_fma_f64 v[4:5], v[2:3], v[12:13], -v[4:5]
	s_delay_alu instid0(VALU_DEP_2) | instskip(NEXT) | instid1(VALU_DEP_2)
	v_mul_f64_e32 v[2:3], s[0:1], v[8:9]
	v_mul_f64_e32 v[4:5], s[0:1], v[4:5]
	global_store_b128 v[6:7], v[2:5], off
	global_load_b128 v[2:5], v199, s[12:13] offset:4608
	ds_load_b128 v[6:9], v194 offset:4608
	s_wait_loadcnt_dscnt 0x0
	v_mul_f64_e32 v[10:11], v[8:9], v[4:5]
	v_mul_f64_e32 v[4:5], v[6:7], v[4:5]
	s_delay_alu instid0(VALU_DEP_2) | instskip(NEXT) | instid1(VALU_DEP_2)
	v_fma_f64 v[6:7], v[6:7], v[2:3], v[10:11]
	v_fma_f64 v[4:5], v[2:3], v[8:9], -v[4:5]
	v_mad_co_u64_u32 v[8:9], null, s4, v235, 0
	s_delay_alu instid0(VALU_DEP_3) | instskip(NEXT) | instid1(VALU_DEP_2)
	v_mul_f64_e32 v[2:3], s[0:1], v[6:7]
	v_mov_b32_e32 v6, v9
	s_delay_alu instid0(VALU_DEP_4) | instskip(NEXT) | instid1(VALU_DEP_2)
	v_mul_f64_e32 v[4:5], s[0:1], v[4:5]
	v_mad_co_u64_u32 v[6:7], null, s5, v235, v[6:7]
	s_delay_alu instid0(VALU_DEP_1) | instskip(NEXT) | instid1(VALU_DEP_1)
	v_mov_b32_e32 v9, v6
	v_lshlrev_b64_e32 v[6:7], 4, v[8:9]
	s_delay_alu instid0(VALU_DEP_1) | instskip(SKIP_1) | instid1(VALU_DEP_2)
	v_add_co_u32 v0, vcc_lo, v0, v6
	s_wait_alu 0xfffd
	v_add_co_ci_u32_e32 v1, vcc_lo, v1, v7, vcc_lo
	global_store_b128 v[0:1], v[2:5], off
.LBB0_23:
	s_nop 0
	s_sendmsg sendmsg(MSG_DEALLOC_VGPRS)
	s_endpgm
	.section	.rodata,"a",@progbits
	.p2align	6, 0x0
	.amdhsa_kernel bluestein_single_fwd_len306_dim1_dp_op_CI_CI
		.amdhsa_group_segment_fixed_size 34272
		.amdhsa_private_segment_fixed_size 508
		.amdhsa_kernarg_size 104
		.amdhsa_user_sgpr_count 2
		.amdhsa_user_sgpr_dispatch_ptr 0
		.amdhsa_user_sgpr_queue_ptr 0
		.amdhsa_user_sgpr_kernarg_segment_ptr 1
		.amdhsa_user_sgpr_dispatch_id 0
		.amdhsa_user_sgpr_private_segment_size 0
		.amdhsa_wavefront_size32 1
		.amdhsa_uses_dynamic_stack 0
		.amdhsa_enable_private_segment 1
		.amdhsa_system_sgpr_workgroup_id_x 1
		.amdhsa_system_sgpr_workgroup_id_y 0
		.amdhsa_system_sgpr_workgroup_id_z 0
		.amdhsa_system_sgpr_workgroup_info 0
		.amdhsa_system_vgpr_workitem_id 0
		.amdhsa_next_free_vgpr 256
		.amdhsa_next_free_sgpr 60
		.amdhsa_reserve_vcc 1
		.amdhsa_float_round_mode_32 0
		.amdhsa_float_round_mode_16_64 0
		.amdhsa_float_denorm_mode_32 3
		.amdhsa_float_denorm_mode_16_64 3
		.amdhsa_fp16_overflow 0
		.amdhsa_workgroup_processor_mode 1
		.amdhsa_memory_ordered 1
		.amdhsa_forward_progress 0
		.amdhsa_round_robin_scheduling 0
		.amdhsa_exception_fp_ieee_invalid_op 0
		.amdhsa_exception_fp_denorm_src 0
		.amdhsa_exception_fp_ieee_div_zero 0
		.amdhsa_exception_fp_ieee_overflow 0
		.amdhsa_exception_fp_ieee_underflow 0
		.amdhsa_exception_fp_ieee_inexact 0
		.amdhsa_exception_int_div_zero 0
	.end_amdhsa_kernel
	.text
.Lfunc_end0:
	.size	bluestein_single_fwd_len306_dim1_dp_op_CI_CI, .Lfunc_end0-bluestein_single_fwd_len306_dim1_dp_op_CI_CI
                                        ; -- End function
	.section	.AMDGPU.csdata,"",@progbits
; Kernel info:
; codeLenInByte = 21520
; NumSgprs: 62
; NumVgprs: 256
; ScratchSize: 508
; MemoryBound: 0
; FloatMode: 240
; IeeeMode: 1
; LDSByteSize: 34272 bytes/workgroup (compile time only)
; SGPRBlocks: 7
; VGPRBlocks: 31
; NumSGPRsForWavesPerEU: 62
; NumVGPRsForWavesPerEU: 256
; Occupancy: 5
; WaveLimiterHint : 1
; COMPUTE_PGM_RSRC2:SCRATCH_EN: 1
; COMPUTE_PGM_RSRC2:USER_SGPR: 2
; COMPUTE_PGM_RSRC2:TRAP_HANDLER: 0
; COMPUTE_PGM_RSRC2:TGID_X_EN: 1
; COMPUTE_PGM_RSRC2:TGID_Y_EN: 0
; COMPUTE_PGM_RSRC2:TGID_Z_EN: 0
; COMPUTE_PGM_RSRC2:TIDIG_COMP_CNT: 0
	.text
	.p2alignl 7, 3214868480
	.fill 96, 4, 3214868480
	.type	__hip_cuid_9b68999f3245a764,@object ; @__hip_cuid_9b68999f3245a764
	.section	.bss,"aw",@nobits
	.globl	__hip_cuid_9b68999f3245a764
__hip_cuid_9b68999f3245a764:
	.byte	0                               ; 0x0
	.size	__hip_cuid_9b68999f3245a764, 1

	.ident	"AMD clang version 19.0.0git (https://github.com/RadeonOpenCompute/llvm-project roc-6.4.0 25133 c7fe45cf4b819c5991fe208aaa96edf142730f1d)"
	.section	".note.GNU-stack","",@progbits
	.addrsig
	.addrsig_sym __hip_cuid_9b68999f3245a764
	.amdgpu_metadata
---
amdhsa.kernels:
  - .args:
      - .actual_access:  read_only
        .address_space:  global
        .offset:         0
        .size:           8
        .value_kind:     global_buffer
      - .actual_access:  read_only
        .address_space:  global
        .offset:         8
        .size:           8
        .value_kind:     global_buffer
      - .actual_access:  read_only
        .address_space:  global
        .offset:         16
        .size:           8
        .value_kind:     global_buffer
      - .actual_access:  read_only
        .address_space:  global
        .offset:         24
        .size:           8
        .value_kind:     global_buffer
      - .actual_access:  read_only
        .address_space:  global
        .offset:         32
        .size:           8
        .value_kind:     global_buffer
      - .offset:         40
        .size:           8
        .value_kind:     by_value
      - .address_space:  global
        .offset:         48
        .size:           8
        .value_kind:     global_buffer
      - .address_space:  global
        .offset:         56
        .size:           8
        .value_kind:     global_buffer
      - .address_space:  global
        .offset:         64
        .size:           8
        .value_kind:     global_buffer
      - .address_space:  global
        .offset:         72
        .size:           8
        .value_kind:     global_buffer
      - .offset:         80
        .size:           4
        .value_kind:     by_value
      - .address_space:  global
        .offset:         88
        .size:           8
        .value_kind:     global_buffer
      - .address_space:  global
        .offset:         96
        .size:           8
        .value_kind:     global_buffer
    .group_segment_fixed_size: 34272
    .kernarg_segment_align: 8
    .kernarg_segment_size: 104
    .language:       OpenCL C
    .language_version:
      - 2
      - 0
    .max_flat_workgroup_size: 238
    .name:           bluestein_single_fwd_len306_dim1_dp_op_CI_CI
    .private_segment_fixed_size: 508
    .sgpr_count:     62
    .sgpr_spill_count: 0
    .symbol:         bluestein_single_fwd_len306_dim1_dp_op_CI_CI.kd
    .uniform_work_group_size: 1
    .uses_dynamic_stack: false
    .vgpr_count:     256
    .vgpr_spill_count: 142
    .wavefront_size: 32
    .workgroup_processor_mode: 1
amdhsa.target:   amdgcn-amd-amdhsa--gfx1201
amdhsa.version:
  - 1
  - 2
...

	.end_amdgpu_metadata
